;; amdgpu-corpus repo=ROCm/rocFFT kind=compiled arch=gfx906 opt=O3
	.text
	.amdgcn_target "amdgcn-amd-amdhsa--gfx906"
	.amdhsa_code_object_version 6
	.protected	fft_rtc_back_len3000_factors_10_3_10_10_wgs_100_tpt_100_halfLds_sp_op_CI_CI_unitstride_sbrr_C2R_dirReg ; -- Begin function fft_rtc_back_len3000_factors_10_3_10_10_wgs_100_tpt_100_halfLds_sp_op_CI_CI_unitstride_sbrr_C2R_dirReg
	.globl	fft_rtc_back_len3000_factors_10_3_10_10_wgs_100_tpt_100_halfLds_sp_op_CI_CI_unitstride_sbrr_C2R_dirReg
	.p2align	8
	.type	fft_rtc_back_len3000_factors_10_3_10_10_wgs_100_tpt_100_halfLds_sp_op_CI_CI_unitstride_sbrr_C2R_dirReg,@function
fft_rtc_back_len3000_factors_10_3_10_10_wgs_100_tpt_100_halfLds_sp_op_CI_CI_unitstride_sbrr_C2R_dirReg: ; @fft_rtc_back_len3000_factors_10_3_10_10_wgs_100_tpt_100_halfLds_sp_op_CI_CI_unitstride_sbrr_C2R_dirReg
; %bb.0:
	s_load_dwordx4 s[8:11], s[4:5], 0x58
	s_load_dwordx4 s[12:15], s[4:5], 0x0
	;; [unrolled: 1-line block ×3, first 2 shown]
	v_mul_u32_u24_e32 v1, 0x290, v0
	v_add_u32_sdwa v5, s6, v1 dst_sel:DWORD dst_unused:UNUSED_PAD src0_sel:DWORD src1_sel:WORD_1
	v_mov_b32_e32 v3, 0
	s_waitcnt lgkmcnt(0)
	v_cmp_lt_u64_e64 s[0:1], s[14:15], 2
	v_mov_b32_e32 v1, 0
	v_mov_b32_e32 v6, v3
	s_and_b64 vcc, exec, s[0:1]
	v_mov_b32_e32 v2, 0
	s_cbranch_vccnz .LBB0_8
; %bb.1:
	s_load_dwordx2 s[0:1], s[4:5], 0x10
	s_add_u32 s2, s18, 8
	s_addc_u32 s3, s19, 0
	s_add_u32 s6, s16, 8
	v_mov_b32_e32 v1, 0
	s_addc_u32 s7, s17, 0
	v_mov_b32_e32 v2, 0
	s_waitcnt lgkmcnt(0)
	s_add_u32 s20, s0, 8
	v_mov_b32_e32 v61, v2
	s_addc_u32 s21, s1, 0
	s_mov_b64 s[22:23], 1
	v_mov_b32_e32 v60, v1
.LBB0_2:                                ; =>This Inner Loop Header: Depth=1
	s_load_dwordx2 s[24:25], s[20:21], 0x0
                                        ; implicit-def: $vgpr64_vgpr65
	s_waitcnt lgkmcnt(0)
	v_or_b32_e32 v4, s25, v6
	v_cmp_ne_u64_e32 vcc, 0, v[3:4]
	s_and_saveexec_b64 s[0:1], vcc
	s_xor_b64 s[26:27], exec, s[0:1]
	s_cbranch_execz .LBB0_4
; %bb.3:                                ;   in Loop: Header=BB0_2 Depth=1
	v_cvt_f32_u32_e32 v4, s24
	v_cvt_f32_u32_e32 v7, s25
	s_sub_u32 s0, 0, s24
	s_subb_u32 s1, 0, s25
	v_mac_f32_e32 v4, 0x4f800000, v7
	v_rcp_f32_e32 v4, v4
	v_mul_f32_e32 v4, 0x5f7ffffc, v4
	v_mul_f32_e32 v7, 0x2f800000, v4
	v_trunc_f32_e32 v7, v7
	v_mac_f32_e32 v4, 0xcf800000, v7
	v_cvt_u32_f32_e32 v7, v7
	v_cvt_u32_f32_e32 v4, v4
	v_mul_lo_u32 v8, s0, v7
	v_mul_hi_u32 v9, s0, v4
	v_mul_lo_u32 v11, s1, v4
	v_mul_lo_u32 v10, s0, v4
	v_add_u32_e32 v8, v9, v8
	v_add_u32_e32 v8, v8, v11
	v_mul_hi_u32 v9, v4, v10
	v_mul_lo_u32 v11, v4, v8
	v_mul_hi_u32 v13, v4, v8
	v_mul_hi_u32 v12, v7, v10
	v_mul_lo_u32 v10, v7, v10
	v_mul_hi_u32 v14, v7, v8
	v_add_co_u32_e32 v9, vcc, v9, v11
	v_addc_co_u32_e32 v11, vcc, 0, v13, vcc
	v_mul_lo_u32 v8, v7, v8
	v_add_co_u32_e32 v9, vcc, v9, v10
	v_addc_co_u32_e32 v9, vcc, v11, v12, vcc
	v_addc_co_u32_e32 v10, vcc, 0, v14, vcc
	v_add_co_u32_e32 v8, vcc, v9, v8
	v_addc_co_u32_e32 v9, vcc, 0, v10, vcc
	v_add_co_u32_e32 v4, vcc, v4, v8
	v_addc_co_u32_e32 v7, vcc, v7, v9, vcc
	v_mul_lo_u32 v8, s0, v7
	v_mul_hi_u32 v9, s0, v4
	v_mul_lo_u32 v10, s1, v4
	v_mul_lo_u32 v11, s0, v4
	v_add_u32_e32 v8, v9, v8
	v_add_u32_e32 v8, v8, v10
	v_mul_lo_u32 v12, v4, v8
	v_mul_hi_u32 v13, v4, v11
	v_mul_hi_u32 v14, v4, v8
	v_mul_hi_u32 v10, v7, v11
	v_mul_lo_u32 v11, v7, v11
	v_mul_hi_u32 v9, v7, v8
	v_add_co_u32_e32 v12, vcc, v13, v12
	v_addc_co_u32_e32 v13, vcc, 0, v14, vcc
	v_mul_lo_u32 v8, v7, v8
	v_add_co_u32_e32 v11, vcc, v12, v11
	v_addc_co_u32_e32 v10, vcc, v13, v10, vcc
	v_addc_co_u32_e32 v9, vcc, 0, v9, vcc
	v_add_co_u32_e32 v8, vcc, v10, v8
	v_addc_co_u32_e32 v9, vcc, 0, v9, vcc
	v_add_co_u32_e32 v4, vcc, v4, v8
	v_addc_co_u32_e32 v9, vcc, v7, v9, vcc
	v_mad_u64_u32 v[7:8], s[0:1], v5, v9, 0
	v_mul_hi_u32 v10, v5, v4
	v_add_co_u32_e32 v11, vcc, v10, v7
	v_addc_co_u32_e32 v12, vcc, 0, v8, vcc
	v_mad_u64_u32 v[7:8], s[0:1], v6, v4, 0
	v_mad_u64_u32 v[9:10], s[0:1], v6, v9, 0
	v_add_co_u32_e32 v4, vcc, v11, v7
	v_addc_co_u32_e32 v4, vcc, v12, v8, vcc
	v_addc_co_u32_e32 v7, vcc, 0, v10, vcc
	v_add_co_u32_e32 v4, vcc, v4, v9
	v_addc_co_u32_e32 v9, vcc, 0, v7, vcc
	v_mul_lo_u32 v10, s25, v4
	v_mul_lo_u32 v11, s24, v9
	v_mad_u64_u32 v[7:8], s[0:1], s24, v4, 0
	v_add3_u32 v8, v8, v11, v10
	v_sub_u32_e32 v10, v6, v8
	v_mov_b32_e32 v11, s25
	v_sub_co_u32_e32 v7, vcc, v5, v7
	v_subb_co_u32_e64 v10, s[0:1], v10, v11, vcc
	v_subrev_co_u32_e64 v11, s[0:1], s24, v7
	v_subbrev_co_u32_e64 v10, s[0:1], 0, v10, s[0:1]
	v_cmp_le_u32_e64 s[0:1], s25, v10
	v_cndmask_b32_e64 v12, 0, -1, s[0:1]
	v_cmp_le_u32_e64 s[0:1], s24, v11
	v_cndmask_b32_e64 v11, 0, -1, s[0:1]
	v_cmp_eq_u32_e64 s[0:1], s25, v10
	v_cndmask_b32_e64 v10, v12, v11, s[0:1]
	v_add_co_u32_e64 v11, s[0:1], 2, v4
	v_addc_co_u32_e64 v12, s[0:1], 0, v9, s[0:1]
	v_add_co_u32_e64 v13, s[0:1], 1, v4
	v_addc_co_u32_e64 v14, s[0:1], 0, v9, s[0:1]
	v_subb_co_u32_e32 v8, vcc, v6, v8, vcc
	v_cmp_ne_u32_e64 s[0:1], 0, v10
	v_cmp_le_u32_e32 vcc, s25, v8
	v_cndmask_b32_e64 v10, v14, v12, s[0:1]
	v_cndmask_b32_e64 v12, 0, -1, vcc
	v_cmp_le_u32_e32 vcc, s24, v7
	v_cndmask_b32_e64 v7, 0, -1, vcc
	v_cmp_eq_u32_e32 vcc, s25, v8
	v_cndmask_b32_e32 v7, v12, v7, vcc
	v_cmp_ne_u32_e32 vcc, 0, v7
	v_cndmask_b32_e64 v7, v13, v11, s[0:1]
	v_cndmask_b32_e32 v65, v9, v10, vcc
	v_cndmask_b32_e32 v64, v4, v7, vcc
.LBB0_4:                                ;   in Loop: Header=BB0_2 Depth=1
	s_andn2_saveexec_b64 s[0:1], s[26:27]
	s_cbranch_execz .LBB0_6
; %bb.5:                                ;   in Loop: Header=BB0_2 Depth=1
	v_cvt_f32_u32_e32 v4, s24
	s_sub_i32 s26, 0, s24
	v_mov_b32_e32 v65, v3
	v_rcp_iflag_f32_e32 v4, v4
	v_mul_f32_e32 v4, 0x4f7ffffe, v4
	v_cvt_u32_f32_e32 v4, v4
	v_mul_lo_u32 v7, s26, v4
	v_mul_hi_u32 v7, v4, v7
	v_add_u32_e32 v4, v4, v7
	v_mul_hi_u32 v4, v5, v4
	v_mul_lo_u32 v7, v4, s24
	v_add_u32_e32 v8, 1, v4
	v_sub_u32_e32 v7, v5, v7
	v_subrev_u32_e32 v9, s24, v7
	v_cmp_le_u32_e32 vcc, s24, v7
	v_cndmask_b32_e32 v7, v7, v9, vcc
	v_cndmask_b32_e32 v4, v4, v8, vcc
	v_add_u32_e32 v8, 1, v4
	v_cmp_le_u32_e32 vcc, s24, v7
	v_cndmask_b32_e32 v64, v4, v8, vcc
.LBB0_6:                                ;   in Loop: Header=BB0_2 Depth=1
	s_or_b64 exec, exec, s[0:1]
	v_mul_lo_u32 v4, v65, s24
	v_mul_lo_u32 v9, v64, s25
	v_mad_u64_u32 v[7:8], s[0:1], v64, s24, 0
	s_load_dwordx2 s[0:1], s[6:7], 0x0
	s_load_dwordx2 s[24:25], s[2:3], 0x0
	v_add3_u32 v4, v8, v9, v4
	v_sub_co_u32_e32 v5, vcc, v5, v7
	v_subb_co_u32_e32 v4, vcc, v6, v4, vcc
	s_waitcnt lgkmcnt(0)
	v_mul_lo_u32 v6, s0, v4
	v_mul_lo_u32 v7, s1, v5
	v_mad_u64_u32 v[1:2], s[0:1], s0, v5, v[1:2]
	v_mul_lo_u32 v4, s24, v4
	v_mul_lo_u32 v8, s25, v5
	v_mad_u64_u32 v[60:61], s[0:1], s24, v5, v[60:61]
	s_add_u32 s22, s22, 1
	s_addc_u32 s23, s23, 0
	s_add_u32 s2, s2, 8
	v_add3_u32 v61, v8, v61, v4
	s_addc_u32 s3, s3, 0
	v_mov_b32_e32 v4, s14
	s_add_u32 s6, s6, 8
	v_mov_b32_e32 v5, s15
	s_addc_u32 s7, s7, 0
	v_cmp_ge_u64_e32 vcc, s[22:23], v[4:5]
	s_add_u32 s20, s20, 8
	v_add3_u32 v2, v7, v2, v6
	s_addc_u32 s21, s21, 0
	s_cbranch_vccnz .LBB0_9
; %bb.7:                                ;   in Loop: Header=BB0_2 Depth=1
	v_mov_b32_e32 v5, v64
	v_mov_b32_e32 v6, v65
	s_branch .LBB0_2
.LBB0_8:
	v_mov_b32_e32 v61, v2
	v_mov_b32_e32 v65, v6
	;; [unrolled: 1-line block ×4, first 2 shown]
.LBB0_9:
	s_load_dwordx2 s[4:5], s[4:5], 0x28
	s_lshl_b64 s[6:7], s[14:15], 3
	s_add_u32 s2, s18, s6
	s_addc_u32 s3, s19, s7
                                        ; implicit-def: $vgpr62
	s_waitcnt lgkmcnt(0)
	v_cmp_gt_u64_e64 s[0:1], s[4:5], v[64:65]
	v_cmp_le_u64_e32 vcc, s[4:5], v[64:65]
	s_and_saveexec_b64 s[4:5], vcc
	s_xor_b64 s[4:5], exec, s[4:5]
; %bb.10:
	s_mov_b32 s14, 0x28f5c29
	v_mul_hi_u32 v1, v0, s14
	v_mul_u32_u24_e32 v1, 0x64, v1
	v_sub_u32_e32 v62, v0, v1
                                        ; implicit-def: $vgpr0
                                        ; implicit-def: $vgpr1_vgpr2
; %bb.11:
	s_or_saveexec_b64 s[4:5], s[4:5]
	s_load_dwordx2 s[2:3], s[2:3], 0x0
	s_xor_b64 exec, exec, s[4:5]
	s_cbranch_execz .LBB0_15
; %bb.12:
	s_add_u32 s6, s16, s6
	s_addc_u32 s7, s17, s7
	s_load_dwordx2 s[6:7], s[6:7], 0x0
	s_mov_b32 s14, 0x28f5c29
	v_mul_hi_u32 v5, v0, s14
	v_lshlrev_b64 v[1:2], 3, v[1:2]
	s_waitcnt lgkmcnt(0)
	v_mul_lo_u32 v6, s7, v64
	v_mul_lo_u32 v7, s6, v65
	v_mad_u64_u32 v[3:4], s[6:7], s6, v64, 0
	v_mul_u32_u24_e32 v5, 0x64, v5
	v_sub_u32_e32 v62, v0, v5
	v_add3_u32 v4, v4, v7, v6
	v_lshlrev_b64 v[3:4], 3, v[3:4]
	v_mov_b32_e32 v0, s9
	v_add_co_u32_e32 v3, vcc, s8, v3
	v_addc_co_u32_e32 v0, vcc, v0, v4, vcc
	v_add_co_u32_e32 v1, vcc, v3, v1
	v_addc_co_u32_e32 v0, vcc, v0, v2, vcc
	v_lshlrev_b32_e32 v63, 3, v62
	v_add_co_u32_e32 v2, vcc, v1, v63
	v_addc_co_u32_e32 v3, vcc, 0, v0, vcc
	s_movk_i32 s6, 0x1000
	v_add_co_u32_e32 v6, vcc, s6, v2
	v_addc_co_u32_e32 v7, vcc, 0, v3, vcc
	s_movk_i32 s6, 0x2000
	;; [unrolled: 3-line block ×3, first 2 shown]
	global_load_dwordx2 v[4:5], v[2:3], off offset:2400
	global_load_dwordx2 v[8:9], v[2:3], off offset:3200
	;; [unrolled: 1-line block ×13, first 2 shown]
	v_add_co_u32_e32 v6, vcc, s6, v2
	v_addc_co_u32_e32 v7, vcc, 0, v3, vcc
	global_load_dwordx2 v[16:17], v[2:3], off
	global_load_dwordx2 v[34:35], v[2:3], off offset:1600
	global_load_dwordx2 v[36:37], v[2:3], off offset:800
	;; [unrolled: 1-line block ×6, first 2 shown]
	s_movk_i32 s6, 0x4000
	v_add_co_u32_e32 v46, vcc, s6, v2
	v_addc_co_u32_e32 v47, vcc, 0, v3, vcc
	v_add_co_u32_e32 v2, vcc, 0x5000, v2
	v_addc_co_u32_e32 v3, vcc, 0, v3, vcc
	global_load_dwordx2 v[48:49], v[6:7], off offset:3712
	global_load_dwordx2 v[50:51], v[46:47], off offset:416
	;; [unrolled: 1-line block ×10, first 2 shown]
	v_add_u32_e32 v2, 0, v63
	v_add_u32_e32 v3, 0x400, v2
	;; [unrolled: 1-line block ×9, first 2 shown]
	s_movk_i32 s6, 0x63
	v_cmp_eq_u32_e32 vcc, s6, v62
	s_waitcnt vmcnt(15)
	ds_write2_b64 v3, v[34:35], v[4:5] offset0:72 offset1:172
	ds_write2_b64 v6, v[8:9], v[10:11] offset0:144 offset1:244
	;; [unrolled: 1-line block ×7, first 2 shown]
	v_add_u32_e32 v3, 0x3800, v2
	s_waitcnt vmcnt(12)
	ds_write2_b64 v75, v[38:39], v[40:41] offset0:64 offset1:164
	ds_write2_b64 v2, v[16:17], v[36:37] offset1:100
	s_waitcnt vmcnt(10)
	ds_write2_b64 v3, v[42:43], v[44:45] offset0:8 offset1:108
	v_add_u32_e32 v3, 0x3c00, v2
	s_waitcnt vmcnt(8)
	ds_write2_b64 v3, v[48:49], v[50:51] offset0:80 offset1:180
	v_add_u32_e32 v3, 0x4000, v2
	;; [unrolled: 3-line block ×4, first 2 shown]
	v_add_u32_e32 v2, 0x5400, v2
	s_waitcnt vmcnt(2)
	ds_write2_b64 v3, v[66:67], v[68:69] offset0:40 offset1:140
	s_waitcnt vmcnt(0)
	ds_write2_b64 v2, v[70:71], v[72:73] offset0:112 offset1:212
	s_and_saveexec_b64 s[6:7], vcc
	s_cbranch_execz .LBB0_14
; %bb.13:
	v_add_co_u32_e32 v1, vcc, 0x5000, v1
	v_addc_co_u32_e32 v2, vcc, 0, v0, vcc
	global_load_dwordx2 v[0:1], v[1:2], off offset:3520
	v_mov_b32_e32 v2, 0
	v_mov_b32_e32 v62, 0x63
	s_waitcnt vmcnt(0)
	ds_write_b64 v2, v[0:1] offset:24000
.LBB0_14:
	s_or_b64 exec, exec, s[6:7]
.LBB0_15:
	s_or_b64 exec, exec, s[4:5]
	v_lshlrev_b32_e32 v0, 3, v62
	v_add_u32_e32 v68, 0, v0
	s_waitcnt lgkmcnt(0)
	s_barrier
	v_sub_u32_e32 v4, 0, v0
	ds_read_b32 v5, v68
	ds_read_b32 v6, v4 offset:24000
	s_add_u32 s6, s12, 0x5d70
	s_addc_u32 s7, s13, 0
	v_cmp_ne_u32_e32 vcc, 0, v62
                                        ; implicit-def: $vgpr0_vgpr1
	s_waitcnt lgkmcnt(0)
	v_add_f32_e32 v2, v6, v5
	v_sub_f32_e32 v3, v5, v6
	s_and_saveexec_b64 s[4:5], vcc
	s_xor_b64 s[4:5], exec, s[4:5]
	s_cbranch_execz .LBB0_17
; %bb.16:
	v_mov_b32_e32 v63, 0
	v_lshlrev_b64 v[0:1], 3, v[62:63]
	v_mov_b32_e32 v2, s7
	v_add_co_u32_e32 v0, vcc, s6, v0
	v_addc_co_u32_e32 v1, vcc, v2, v1, vcc
	global_load_dwordx2 v[0:1], v[0:1], off
	ds_read_b32 v2, v4 offset:24004
	ds_read_b32 v3, v68 offset:4
	v_add_f32_e32 v7, v6, v5
	v_sub_f32_e32 v8, v5, v6
	s_waitcnt lgkmcnt(0)
	v_add_f32_e32 v9, v2, v3
	v_sub_f32_e32 v2, v3, v2
	s_waitcnt vmcnt(0)
	v_fma_f32 v10, v8, v1, v7
	v_fma_f32 v3, v9, v1, v2
	v_fma_f32 v5, -v8, v1, v7
	v_fma_f32 v6, v9, v1, -v2
	v_fma_f32 v2, -v0, v9, v10
	v_fmac_f32_e32 v3, v8, v0
	v_fmac_f32_e32 v5, v0, v9
	v_fmac_f32_e32 v6, v8, v0
	v_mov_b32_e32 v0, v62
	ds_write_b64 v4, v[5:6] offset:24000
	v_mov_b32_e32 v1, v63
.LBB0_17:
	s_andn2_saveexec_b64 s[4:5], s[4:5]
	s_cbranch_execz .LBB0_19
; %bb.18:
	v_mov_b32_e32 v7, 0
	ds_read_b64 v[0:1], v7 offset:12000
	s_waitcnt lgkmcnt(0)
	v_add_f32_e32 v5, v0, v0
	v_mul_f32_e32 v6, -2.0, v1
	v_mov_b32_e32 v0, 0
	v_mov_b32_e32 v1, 0
	ds_write_b64 v7, v[5:6] offset:12000
.LBB0_19:
	s_or_b64 exec, exec, s[4:5]
	v_lshlrev_b64 v[0:1], 3, v[0:1]
	v_mov_b32_e32 v5, s7
	v_add_co_u32_e32 v0, vcc, s6, v0
	v_addc_co_u32_e32 v1, vcc, v5, v1, vcc
	global_load_dwordx2 v[5:6], v[0:1], off offset:800
	global_load_dwordx2 v[7:8], v[0:1], off offset:1600
	;; [unrolled: 1-line block ×4, first 2 shown]
	ds_write_b64 v68, v[2:3]
	ds_read_b64 v[2:3], v68 offset:800
	ds_read_b64 v[13:14], v4 offset:23200
	global_load_dwordx2 v[15:16], v[0:1], off offset:4000
	s_movk_i32 s4, 0x1000
	v_add_u32_e32 v80, 0x2400, v68
	v_add_u32_e32 v79, 0x3800, v68
	s_waitcnt lgkmcnt(0)
	v_add_f32_e32 v17, v2, v13
	v_add_f32_e32 v18, v14, v3
	v_sub_f32_e32 v19, v2, v13
	v_sub_f32_e32 v2, v3, v14
	v_add_u32_e32 v81, 0x1000, v68
	v_add_u32_e32 v78, 0x4800, v68
	v_add_u32_e32 v77, 0x400, v68
	v_add_u32_e32 v74, 0x1800, v68
	v_add_u32_e32 v71, 0x2800, v68
	v_add_u32_e32 v63, 0x3c00, v68
	v_add_u32_e32 v69, 0x5000, v68
	v_add_u32_e32 v73, 0x3000, v68
	v_add_u32_e32 v72, 0x4000, v68
	v_add_u32_e32 v76, 0x800, v68
	v_add_u32_e32 v75, 0x1c00, v68
	v_add_u32_e32 v70, 0x5400, v68
	s_movk_i32 s5, 0xcd
	v_add_u32_e32 v98, 0x320, v62
	v_add_u32_e32 v100, 0x384, v62
	;; [unrolled: 1-line block ×4, first 2 shown]
	s_waitcnt vmcnt(4)
	v_fma_f32 v20, v19, v6, v17
	v_fma_f32 v3, v18, v6, v2
	v_fma_f32 v13, -v19, v6, v17
	v_fma_f32 v14, v18, v6, -v2
	v_fma_f32 v2, -v5, v18, v20
	v_fmac_f32_e32 v3, v19, v5
	v_fmac_f32_e32 v13, v5, v18
	;; [unrolled: 1-line block ×3, first 2 shown]
	ds_write_b64 v68, v[2:3] offset:800
	ds_write_b64 v4, v[13:14] offset:23200
	v_add_co_u32_e32 v13, vcc, s4, v0
	v_addc_co_u32_e32 v14, vcc, 0, v1, vcc
	ds_read_b64 v[2:3], v68 offset:1600
	ds_read_b64 v[5:6], v4 offset:22400
	global_load_dwordx2 v[17:18], v[13:14], off offset:704
	s_movk_i32 s4, 0x2000
	v_add_co_u32_e32 v0, vcc, s4, v0
	s_waitcnt lgkmcnt(0)
	v_add_f32_e32 v19, v2, v5
	v_add_f32_e32 v20, v6, v3
	v_sub_f32_e32 v21, v2, v5
	v_sub_f32_e32 v2, v3, v6
	s_waitcnt vmcnt(4)
	v_fma_f32 v22, v21, v8, v19
	v_fma_f32 v3, v20, v8, v2
	v_fma_f32 v5, -v21, v8, v19
	v_fma_f32 v6, v20, v8, -v2
	v_fma_f32 v2, -v7, v20, v22
	v_fmac_f32_e32 v3, v21, v7
	v_fmac_f32_e32 v5, v7, v20
	;; [unrolled: 1-line block ×3, first 2 shown]
	ds_write_b64 v68, v[2:3] offset:1600
	ds_write_b64 v4, v[5:6] offset:22400
	ds_read_b64 v[2:3], v68 offset:2400
	ds_read_b64 v[5:6], v4 offset:21600
	global_load_dwordx2 v[7:8], v[13:14], off offset:1504
	v_addc_co_u32_e32 v1, vcc, 0, v1, vcc
	s_mov_b32 s4, 0xcccd
	s_waitcnt lgkmcnt(0)
	v_add_f32_e32 v19, v2, v5
	v_add_f32_e32 v20, v6, v3
	v_sub_f32_e32 v21, v2, v5
	v_sub_f32_e32 v2, v3, v6
	s_waitcnt vmcnt(4)
	v_fma_f32 v22, v21, v10, v19
	v_fma_f32 v3, v20, v10, v2
	v_fma_f32 v5, -v21, v10, v19
	v_fma_f32 v6, v20, v10, -v2
	v_fma_f32 v2, -v9, v20, v22
	v_fmac_f32_e32 v3, v21, v9
	v_fmac_f32_e32 v5, v9, v20
	;; [unrolled: 1-line block ×3, first 2 shown]
	ds_write_b64 v68, v[2:3] offset:2400
	ds_write_b64 v4, v[5:6] offset:21600
	ds_read_b64 v[2:3], v68 offset:3200
	ds_read_b64 v[5:6], v4 offset:20800
	global_load_dwordx2 v[9:10], v[13:14], off offset:2304
	v_mul_u32_u24_sdwa v97, v98, s4 dst_sel:DWORD dst_unused:UNUSED_PAD src0_sel:WORD_0 src1_sel:DWORD
	v_lshrrev_b32_e32 v97, 19, v97
	v_mul_lo_u16_e32 v106, 10, v97
	s_waitcnt lgkmcnt(0)
	v_add_f32_e32 v19, v2, v5
	v_add_f32_e32 v20, v6, v3
	v_sub_f32_e32 v21, v2, v5
	v_sub_f32_e32 v2, v3, v6
	s_waitcnt vmcnt(4)
	v_fma_f32 v22, v21, v12, v19
	v_fma_f32 v3, v20, v12, v2
	v_fma_f32 v5, -v21, v12, v19
	v_fma_f32 v6, v20, v12, -v2
	v_fma_f32 v2, -v11, v20, v22
	v_fmac_f32_e32 v3, v21, v11
	v_fmac_f32_e32 v5, v11, v20
	;; [unrolled: 1-line block ×3, first 2 shown]
	ds_write_b64 v68, v[2:3] offset:3200
	ds_write_b64 v4, v[5:6] offset:20800
	ds_read_b64 v[2:3], v68 offset:4000
	ds_read_b64 v[5:6], v4 offset:20000
	global_load_dwordx2 v[11:12], v[13:14], off offset:3104
	v_sub_u16_e32 v98, v98, v106
	v_lshlrev_b32_e32 v106, 4, v98
	s_waitcnt lgkmcnt(0)
	v_add_f32_e32 v19, v2, v5
	v_add_f32_e32 v20, v6, v3
	v_sub_f32_e32 v21, v2, v5
	v_sub_f32_e32 v2, v3, v6
	s_waitcnt vmcnt(4)
	v_fma_f32 v22, v21, v16, v19
	v_fma_f32 v3, v20, v16, v2
	v_fma_f32 v5, -v21, v16, v19
	v_fma_f32 v6, v20, v16, -v2
	v_fma_f32 v2, -v15, v20, v22
	v_fmac_f32_e32 v3, v21, v15
	v_fmac_f32_e32 v5, v15, v20
	;; [unrolled: 1-line block ×3, first 2 shown]
	ds_write_b64 v68, v[2:3] offset:4000
	ds_write_b64 v4, v[5:6] offset:20000
	ds_read_b64 v[2:3], v68 offset:4800
	ds_read_b64 v[5:6], v4 offset:19200
	global_load_dwordx2 v[13:14], v[13:14], off offset:3904
	s_waitcnt lgkmcnt(0)
	v_add_f32_e32 v15, v2, v5
	v_add_f32_e32 v16, v6, v3
	v_sub_f32_e32 v19, v2, v5
	v_sub_f32_e32 v2, v3, v6
	s_waitcnt vmcnt(4)
	v_fma_f32 v20, v19, v18, v15
	v_fma_f32 v3, v16, v18, v2
	v_fma_f32 v5, -v19, v18, v15
	v_fma_f32 v6, v16, v18, -v2
	v_fma_f32 v2, -v17, v16, v20
	v_fmac_f32_e32 v3, v19, v17
	v_fmac_f32_e32 v5, v17, v16
	;; [unrolled: 1-line block ×3, first 2 shown]
	ds_write_b64 v68, v[2:3] offset:4800
	ds_write_b64 v4, v[5:6] offset:19200
	ds_read_b64 v[2:3], v68 offset:5600
	ds_read_b64 v[5:6], v4 offset:18400
	global_load_dwordx2 v[15:16], v[0:1], off offset:608
	s_waitcnt lgkmcnt(0)
	v_add_f32_e32 v17, v2, v5
	v_add_f32_e32 v18, v6, v3
	v_sub_f32_e32 v19, v2, v5
	v_sub_f32_e32 v2, v3, v6
	s_waitcnt vmcnt(4)
	v_fma_f32 v20, v19, v8, v17
	v_fma_f32 v3, v18, v8, v2
	v_fma_f32 v5, -v19, v8, v17
	v_fma_f32 v6, v18, v8, -v2
	v_fma_f32 v2, -v7, v18, v20
	v_fmac_f32_e32 v3, v19, v7
	v_fmac_f32_e32 v5, v7, v18
	v_fmac_f32_e32 v6, v19, v7
	ds_write_b64 v68, v[2:3] offset:5600
	ds_write_b64 v4, v[5:6] offset:18400
	ds_read_b64 v[2:3], v68 offset:6400
	ds_read_b64 v[5:6], v4 offset:17600
	s_waitcnt lgkmcnt(0)
	v_add_f32_e32 v7, v2, v5
	v_add_f32_e32 v8, v6, v3
	v_sub_f32_e32 v17, v2, v5
	v_sub_f32_e32 v18, v3, v6
	global_load_dwordx2 v[5:6], v[0:1], off offset:1408
	s_waitcnt vmcnt(4)
	v_fma_f32 v2, v17, v10, v7
	v_fma_f32 v3, v8, v10, v18
	v_fma_f32 v2, -v9, v8, v2
	v_fmac_f32_e32 v3, v17, v9
	ds_write_b64 v68, v[2:3] offset:6400
	v_fma_f32 v2, -v17, v10, v7
	v_fma_f32 v3, v8, v10, -v18
	v_fmac_f32_e32 v2, v9, v8
	v_fmac_f32_e32 v3, v17, v9
	ds_write_b64 v4, v[2:3] offset:17600
	ds_read_b64 v[2:3], v68 offset:7200
	ds_read_b64 v[7:8], v4 offset:16800
	s_waitcnt lgkmcnt(0)
	v_add_f32_e32 v9, v2, v7
	v_add_f32_e32 v10, v8, v3
	v_sub_f32_e32 v17, v2, v7
	v_sub_f32_e32 v18, v3, v8
	global_load_dwordx2 v[7:8], v[0:1], off offset:2208
	s_waitcnt vmcnt(4)
	v_fma_f32 v2, v17, v12, v9
	v_fma_f32 v3, v10, v12, v18
	v_fma_f32 v2, -v11, v10, v2
	v_fmac_f32_e32 v3, v17, v11
	ds_write_b64 v68, v[2:3] offset:7200
	v_fma_f32 v2, -v17, v12, v9
	v_fma_f32 v3, v10, v12, -v18
	v_fmac_f32_e32 v2, v11, v10
	v_fmac_f32_e32 v3, v17, v11
	ds_write_b64 v4, v[2:3] offset:16800
	ds_read_b64 v[2:3], v68 offset:8000
	ds_read_b64 v[9:10], v4 offset:16000
	global_load_dwordx2 v[0:1], v[0:1], off offset:3008
	s_waitcnt lgkmcnt(0)
	v_add_f32_e32 v11, v2, v9
	v_add_f32_e32 v12, v10, v3
	v_sub_f32_e32 v9, v2, v9
	v_sub_f32_e32 v10, v3, v10
	s_waitcnt vmcnt(4)
	v_fma_f32 v2, v9, v14, v11
	v_fma_f32 v3, v12, v14, v10
	v_fma_f32 v2, -v13, v12, v2
	v_fmac_f32_e32 v3, v9, v13
	ds_write_b64 v68, v[2:3] offset:8000
	v_fma_f32 v2, -v9, v14, v11
	v_fma_f32 v3, v12, v14, -v10
	v_fmac_f32_e32 v2, v13, v12
	v_fmac_f32_e32 v3, v9, v13
	ds_write_b64 v4, v[2:3] offset:16000
	ds_read_b64 v[2:3], v68 offset:8800
	ds_read_b64 v[9:10], v4 offset:15200
	s_waitcnt lgkmcnt(0)
	v_add_f32_e32 v11, v2, v9
	v_add_f32_e32 v12, v10, v3
	v_sub_f32_e32 v9, v2, v9
	v_sub_f32_e32 v10, v3, v10
	s_waitcnt vmcnt(3)
	v_fma_f32 v2, v9, v16, v11
	v_fma_f32 v3, v12, v16, v10
	v_fma_f32 v2, -v15, v12, v2
	v_fmac_f32_e32 v3, v9, v15
	ds_write_b64 v68, v[2:3] offset:8800
	v_fma_f32 v2, -v9, v16, v11
	v_fma_f32 v3, v12, v16, -v10
	v_fmac_f32_e32 v2, v15, v12
	v_fmac_f32_e32 v3, v9, v15
	ds_write_b64 v4, v[2:3] offset:15200
	ds_read_b64 v[2:3], v68 offset:9600
	ds_read_b64 v[9:10], v4 offset:14400
	;; [unrolled: 18-line block ×4, first 2 shown]
	s_waitcnt lgkmcnt(0)
	v_add_f32_e32 v7, v2, v5
	v_add_f32_e32 v8, v6, v3
	v_sub_f32_e32 v5, v2, v5
	v_sub_f32_e32 v6, v3, v6
	s_waitcnt vmcnt(0)
	v_fma_f32 v2, v5, v1, v7
	v_fma_f32 v3, v8, v1, v6
	v_fma_f32 v2, -v0, v8, v2
	v_fmac_f32_e32 v3, v5, v0
	ds_write_b64 v68, v[2:3] offset:11200
	v_fma_f32 v2, -v5, v1, v7
	v_fma_f32 v3, v8, v1, -v6
	v_fmac_f32_e32 v2, v0, v8
	v_fmac_f32_e32 v3, v5, v0
	ds_write_b64 v4, v[2:3] offset:12800
	s_waitcnt lgkmcnt(0)
	s_barrier
	s_barrier
	ds_read2_b64 v[48:51], v80 offset0:48 offset1:148
	ds_read2_b64 v[52:55], v79 offset0:8 offset1:108
	ds_read2_b64 v[40:43], v68 offset1:100
	ds_read2_b64 v[44:47], v81 offset0:88 offset1:188
	ds_read2_b64 v[56:59], v78 offset0:96 offset1:196
	;; [unrolled: 1-line block ×3, first 2 shown]
	s_waitcnt lgkmcnt(4)
	v_add_f32_e32 v67, v48, v52
	s_waitcnt lgkmcnt(3)
	v_fma_f32 v67, -0.5, v67, v40
	v_mov_b32_e32 v83, v67
	s_waitcnt lgkmcnt(1)
	v_sub_f32_e32 v82, v45, v57
	v_fmac_f32_e32 v83, 0xbf737871, v82
	v_sub_f32_e32 v84, v49, v53
	v_sub_f32_e32 v85, v44, v48
	;; [unrolled: 1-line block ×3, first 2 shown]
	v_fmac_f32_e32 v67, 0x3f737871, v82
	v_fmac_f32_e32 v83, 0xbf167918, v84
	v_add_f32_e32 v85, v85, v86
	v_fmac_f32_e32 v67, 0x3f167918, v84
	v_fmac_f32_e32 v83, 0x3e9e377a, v85
	;; [unrolled: 1-line block ×3, first 2 shown]
	v_add_f32_e32 v85, v44, v56
	v_add_f32_e32 v66, v40, v44
	v_fma_f32 v40, -0.5, v85, v40
	v_mov_b32_e32 v85, v40
	v_fmac_f32_e32 v85, 0x3f737871, v84
	v_sub_f32_e32 v86, v48, v44
	v_sub_f32_e32 v87, v52, v56
	v_fmac_f32_e32 v40, 0xbf737871, v84
	v_add_f32_e32 v84, v49, v53
	v_add_f32_e32 v66, v66, v48
	v_fmac_f32_e32 v85, 0xbf167918, v82
	v_add_f32_e32 v86, v86, v87
	v_fmac_f32_e32 v40, 0x3f167918, v82
	v_fma_f32 v84, -0.5, v84, v41
	v_add_f32_e32 v66, v66, v52
	v_fmac_f32_e32 v85, 0x3e9e377a, v86
	v_fmac_f32_e32 v40, 0x3e9e377a, v86
	v_sub_f32_e32 v44, v44, v56
	v_mov_b32_e32 v86, v84
	v_add_f32_e32 v66, v66, v56
	v_fmac_f32_e32 v86, 0x3f737871, v44
	v_sub_f32_e32 v48, v48, v52
	v_sub_f32_e32 v52, v45, v49
	;; [unrolled: 1-line block ×3, first 2 shown]
	v_fmac_f32_e32 v84, 0xbf737871, v44
	ds_read2_b64 v[28:31], v74 offset0:32 offset1:132
	v_fmac_f32_e32 v86, 0x3f167918, v48
	v_add_f32_e32 v52, v52, v56
	v_fmac_f32_e32 v84, 0xbf167918, v48
	ds_read2_b64 v[36:39], v71 offset0:120 offset1:220
	v_fmac_f32_e32 v86, 0x3e9e377a, v52
	v_fmac_f32_e32 v84, 0x3e9e377a, v52
	v_add_f32_e32 v52, v45, v57
	ds_read2_b64 v[24:27], v63 offset0:80 offset1:180
	v_add_f32_e32 v82, v41, v45
	v_fma_f32 v41, -0.5, v52, v41
	ds_read2_b64 v[32:35], v69 offset0:40 offset1:140
	v_mov_b32_e32 v87, v41
	v_fmac_f32_e32 v87, 0xbf737871, v48
	v_fmac_f32_e32 v41, 0x3f737871, v48
	;; [unrolled: 1-line block ×4, first 2 shown]
	s_waitcnt lgkmcnt(3)
	v_add_f32_e32 v44, v2, v30
	s_waitcnt lgkmcnt(2)
	v_add_f32_e32 v44, v44, v38
	;; [unrolled: 2-line block ×3, first 2 shown]
	v_add_f32_e32 v82, v82, v49
	v_sub_f32_e32 v45, v49, v45
	v_sub_f32_e32 v49, v53, v57
	s_waitcnt lgkmcnt(0)
	v_add_f32_e32 v88, v44, v34
	v_add_f32_e32 v44, v38, v26
	;; [unrolled: 1-line block ×3, first 2 shown]
	v_fma_f32 v89, -0.5, v44, v2
	v_fmac_f32_e32 v87, 0x3e9e377a, v45
	v_fmac_f32_e32 v41, 0x3e9e377a, v45
	v_sub_f32_e32 v44, v31, v35
	v_mov_b32_e32 v45, v89
	v_fmac_f32_e32 v45, 0xbf737871, v44
	v_sub_f32_e32 v48, v39, v27
	v_sub_f32_e32 v49, v30, v38
	;; [unrolled: 1-line block ×3, first 2 shown]
	v_fmac_f32_e32 v89, 0x3f737871, v44
	v_fmac_f32_e32 v45, 0xbf167918, v48
	v_add_f32_e32 v49, v49, v52
	v_fmac_f32_e32 v89, 0x3f167918, v48
	v_fmac_f32_e32 v45, 0x3e9e377a, v49
	;; [unrolled: 1-line block ×3, first 2 shown]
	v_add_f32_e32 v49, v30, v34
	v_fma_f32 v49, -0.5, v49, v2
	v_mov_b32_e32 v90, v49
	v_fmac_f32_e32 v90, 0x3f737871, v48
	v_sub_f32_e32 v2, v38, v30
	v_sub_f32_e32 v52, v26, v34
	v_fmac_f32_e32 v49, 0xbf737871, v48
	v_fmac_f32_e32 v90, 0xbf167918, v44
	v_add_f32_e32 v2, v2, v52
	v_fmac_f32_e32 v49, 0x3f167918, v44
	v_fmac_f32_e32 v90, 0x3e9e377a, v2
	;; [unrolled: 1-line block ×3, first 2 shown]
	v_add_f32_e32 v2, v3, v31
	v_add_f32_e32 v2, v2, v39
	;; [unrolled: 1-line block ×5, first 2 shown]
	v_fma_f32 v92, -0.5, v2, v3
	v_sub_f32_e32 v2, v30, v34
	v_mov_b32_e32 v30, v92
	v_fmac_f32_e32 v30, 0x3f737871, v2
	v_sub_f32_e32 v26, v38, v26
	v_sub_f32_e32 v34, v31, v39
	;; [unrolled: 1-line block ×3, first 2 shown]
	v_fmac_f32_e32 v92, 0xbf737871, v2
	v_fmac_f32_e32 v30, 0x3f167918, v26
	v_add_f32_e32 v34, v34, v38
	v_fmac_f32_e32 v92, 0xbf167918, v26
	v_fmac_f32_e32 v30, 0x3e9e377a, v34
	;; [unrolled: 1-line block ×3, first 2 shown]
	v_add_f32_e32 v34, v31, v35
	v_fma_f32 v3, -0.5, v34, v3
	v_mov_b32_e32 v34, v3
	v_sub_f32_e32 v31, v39, v31
	v_sub_f32_e32 v27, v27, v35
	v_fmac_f32_e32 v3, 0x3f737871, v26
	v_fmac_f32_e32 v34, 0xbf737871, v26
	v_add_f32_e32 v27, v31, v27
	v_fmac_f32_e32 v3, 0xbf167918, v2
	v_mul_f32_e32 v39, 0x3f167918, v45
	v_fmac_f32_e32 v34, 0x3f167918, v2
	v_fmac_f32_e32 v3, 0x3e9e377a, v27
	v_add_f32_e32 v52, v66, v88
	v_mul_f32_e32 v26, 0xbf167918, v30
	v_fmac_f32_e32 v39, 0x3f4f1bbd, v30
	v_sub_f32_e32 v30, v66, v88
	v_add_f32_e32 v66, v42, v46
	v_add_f32_e32 v82, v82, v53
	v_fmac_f32_e32 v34, 0x3e9e377a, v27
	v_mul_f32_e32 v31, 0xbf737871, v3
	v_add_f32_e32 v66, v66, v50
	v_add_f32_e32 v82, v82, v57
	v_mul_f32_e32 v27, 0xbf737871, v34
	v_fmac_f32_e32 v31, 0xbe9e377a, v49
	v_mul_f32_e32 v93, 0x3e9e377a, v34
	v_add_f32_e32 v66, v66, v54
	v_fmac_f32_e32 v26, 0x3f4f1bbd, v45
	v_fmac_f32_e32 v27, 0x3e9e377a, v90
	v_add_f32_e32 v48, v40, v31
	v_mul_f32_e32 v35, 0xbf167918, v92
	v_add_f32_e32 v53, v82, v91
	v_fmac_f32_e32 v93, 0x3f737871, v90
	v_mul_f32_e32 v90, 0xbe9e377a, v3
	v_mul_f32_e32 v92, 0xbf4f1bbd, v92
	v_sub_f32_e32 v34, v40, v31
	v_sub_f32_e32 v31, v82, v91
	v_add_f32_e32 v82, v66, v58
	v_add_f32_e32 v66, v50, v54
	;; [unrolled: 1-line block ×3, first 2 shown]
	v_fmac_f32_e32 v35, 0xbf4f1bbd, v89
	v_fmac_f32_e32 v90, 0x3f737871, v49
	;; [unrolled: 1-line block ×3, first 2 shown]
	v_sub_f32_e32 v26, v83, v26
	v_fma_f32 v83, -0.5, v66, v42
	v_add_f32_e32 v2, v67, v35
	v_add_f32_e32 v49, v41, v90
	;; [unrolled: 1-line block ×3, first 2 shown]
	v_sub_f32_e32 v40, v67, v35
	v_sub_f32_e32 v35, v41, v90
	;; [unrolled: 1-line block ×4, first 2 shown]
	v_mov_b32_e32 v84, v83
	v_add_f32_e32 v44, v85, v27
	v_add_f32_e32 v57, v86, v39
	v_sub_f32_e32 v38, v85, v27
	v_sub_f32_e32 v27, v86, v39
	v_fmac_f32_e32 v84, 0xbf737871, v66
	v_sub_f32_e32 v67, v51, v55
	v_sub_f32_e32 v85, v46, v50
	;; [unrolled: 1-line block ×3, first 2 shown]
	v_fmac_f32_e32 v83, 0x3f737871, v66
	v_fmac_f32_e32 v84, 0xbf167918, v67
	v_add_f32_e32 v85, v85, v86
	v_fmac_f32_e32 v83, 0x3f167918, v67
	v_fmac_f32_e32 v84, 0x3e9e377a, v85
	;; [unrolled: 1-line block ×3, first 2 shown]
	v_add_f32_e32 v85, v46, v58
	v_fma_f32 v42, -0.5, v85, v42
	v_mov_b32_e32 v85, v42
	v_fmac_f32_e32 v85, 0x3f737871, v67
	v_fmac_f32_e32 v42, 0xbf737871, v67
	;; [unrolled: 1-line block ×4, first 2 shown]
	v_add_f32_e32 v66, v43, v47
	v_add_f32_e32 v45, v87, v93
	v_sub_f32_e32 v39, v87, v93
	v_sub_f32_e32 v86, v50, v46
	;; [unrolled: 1-line block ×3, first 2 shown]
	v_add_f32_e32 v66, v66, v51
	v_add_f32_e32 v86, v86, v87
	;; [unrolled: 1-line block ×3, first 2 shown]
	v_fmac_f32_e32 v85, 0x3e9e377a, v86
	v_fmac_f32_e32 v42, 0x3e9e377a, v86
	v_add_f32_e32 v86, v66, v59
	v_add_f32_e32 v66, v51, v55
	v_fma_f32 v87, -0.5, v66, v43
	v_sub_f32_e32 v46, v46, v58
	v_mov_b32_e32 v88, v87
	v_fmac_f32_e32 v88, 0x3f737871, v46
	v_sub_f32_e32 v50, v50, v54
	v_sub_f32_e32 v54, v47, v51
	;; [unrolled: 1-line block ×3, first 2 shown]
	v_fmac_f32_e32 v87, 0xbf737871, v46
	v_fmac_f32_e32 v88, 0x3f167918, v50
	v_add_f32_e32 v54, v54, v58
	v_fmac_f32_e32 v87, 0xbf167918, v50
	ds_read2_b64 v[20:23], v73 offset0:64 offset1:164
	ds_read2_b64 v[8:11], v72 offset0:152 offset1:252
	v_fmac_f32_e32 v88, 0x3e9e377a, v54
	v_fmac_f32_e32 v87, 0x3e9e377a, v54
	v_add_f32_e32 v54, v47, v59
	ds_read2_b64 v[4:7], v76 offset0:144 offset1:244
	v_fmac_f32_e32 v43, -0.5, v54
	ds_read2_b64 v[16:19], v75 offset0:104 offset1:204
	ds_read2_b64 v[12:15], v70 offset0:112 offset1:212
	v_mov_b32_e32 v89, v43
	v_fmac_f32_e32 v89, 0xbf737871, v50
	v_sub_f32_e32 v47, v51, v47
	v_sub_f32_e32 v51, v55, v59
	v_fmac_f32_e32 v43, 0x3f737871, v50
	v_fmac_f32_e32 v89, 0x3f167918, v46
	v_add_f32_e32 v47, v47, v51
	v_fmac_f32_e32 v43, 0xbf167918, v46
	v_fmac_f32_e32 v89, 0x3e9e377a, v47
	;; [unrolled: 1-line block ×3, first 2 shown]
	s_waitcnt lgkmcnt(3)
	v_add_f32_e32 v47, v20, v8
	s_waitcnt lgkmcnt(2)
	v_fma_f32 v47, -0.5, v47, v4
	s_waitcnt lgkmcnt(0)
	v_sub_f32_e32 v50, v17, v13
	v_mov_b32_e32 v51, v47
	v_fmac_f32_e32 v51, 0xbf737871, v50
	v_sub_f32_e32 v54, v21, v9
	v_sub_f32_e32 v55, v16, v20
	;; [unrolled: 1-line block ×3, first 2 shown]
	v_fmac_f32_e32 v47, 0x3f737871, v50
	v_fmac_f32_e32 v51, 0xbf167918, v54
	v_add_f32_e32 v55, v55, v58
	v_fmac_f32_e32 v47, 0x3f167918, v54
	v_fmac_f32_e32 v51, 0x3e9e377a, v55
	;; [unrolled: 1-line block ×3, first 2 shown]
	v_add_f32_e32 v55, v16, v12
	v_add_f32_e32 v46, v4, v16
	v_fma_f32 v4, -0.5, v55, v4
	v_mov_b32_e32 v55, v4
	v_fmac_f32_e32 v55, 0x3f737871, v54
	v_fmac_f32_e32 v4, 0xbf737871, v54
	;; [unrolled: 1-line block ×4, first 2 shown]
	v_add_f32_e32 v50, v5, v17
	v_add_f32_e32 v50, v50, v21
	;; [unrolled: 1-line block ×7, first 2 shown]
	v_fma_f32 v91, -0.5, v50, v5
	v_add_f32_e32 v46, v46, v12
	v_sub_f32_e32 v58, v20, v16
	v_sub_f32_e32 v59, v8, v12
	;; [unrolled: 1-line block ×3, first 2 shown]
	v_mov_b32_e32 v16, v91
	v_fmac_f32_e32 v16, 0x3f737871, v12
	v_sub_f32_e32 v8, v20, v8
	v_sub_f32_e32 v20, v17, v21
	;; [unrolled: 1-line block ×3, first 2 shown]
	v_fmac_f32_e32 v91, 0xbf737871, v12
	v_fmac_f32_e32 v16, 0x3f167918, v8
	v_add_f32_e32 v20, v20, v50
	v_fmac_f32_e32 v91, 0xbf167918, v8
	v_fmac_f32_e32 v16, 0x3e9e377a, v20
	v_fmac_f32_e32 v91, 0x3e9e377a, v20
	v_add_f32_e32 v20, v17, v13
	v_fma_f32 v5, -0.5, v20, v5
	v_mov_b32_e32 v20, v5
	v_sub_f32_e32 v17, v21, v17
	v_sub_f32_e32 v9, v9, v13
	v_fmac_f32_e32 v5, 0x3f737871, v8
	v_fmac_f32_e32 v20, 0xbf737871, v8
	v_add_f32_e32 v9, v17, v9
	v_fmac_f32_e32 v5, 0xbf167918, v12
	v_add_f32_e32 v58, v58, v59
	v_fmac_f32_e32 v20, 0x3f167918, v12
	v_fmac_f32_e32 v5, 0x3e9e377a, v9
	;; [unrolled: 1-line block ×4, first 2 shown]
	v_mul_f32_e32 v17, 0xbf737871, v5
	v_mul_f32_e32 v5, 0xbe9e377a, v5
	v_fmac_f32_e32 v55, 0x3e9e377a, v58
	v_mul_f32_e32 v9, 0xbf737871, v20
	v_mul_f32_e32 v93, 0x3e9e377a, v20
	v_fmac_f32_e32 v5, 0x3f737871, v4
	v_mul_f32_e32 v8, 0xbf167918, v16
	v_fmac_f32_e32 v9, 0x3e9e377a, v55
	;; [unrolled: 2-line block ×3, first 2 shown]
	v_add_f32_e32 v55, v43, v5
	v_sub_f32_e32 v5, v43, v5
	v_add_f32_e32 v43, v36, v24
	v_fmac_f32_e32 v8, 0x3f4f1bbd, v51
	v_fmac_f32_e32 v21, 0xbf4f1bbd, v47
	v_mul_f32_e32 v92, 0x3f167918, v51
	v_fma_f32 v43, -0.5, v43, v0
	v_add_f32_e32 v58, v82, v46
	v_add_f32_e32 v66, v84, v8
	;; [unrolled: 1-line block ×3, first 2 shown]
	v_fmac_f32_e32 v92, 0x3f4f1bbd, v16
	v_mul_f32_e32 v91, 0xbf4f1bbd, v91
	v_sub_f32_e32 v46, v82, v46
	v_sub_f32_e32 v16, v84, v8
	;; [unrolled: 1-line block ×4, first 2 shown]
	v_mov_b32_e32 v83, v43
	v_add_f32_e32 v50, v85, v9
	v_add_f32_e32 v59, v86, v90
	v_fmac_f32_e32 v91, 0x3f167918, v47
	v_sub_f32_e32 v20, v85, v9
	v_sub_f32_e32 v47, v86, v90
	v_fmac_f32_e32 v83, 0xbf737871, v82
	v_sub_f32_e32 v84, v37, v25
	v_sub_f32_e32 v85, v28, v36
	;; [unrolled: 1-line block ×3, first 2 shown]
	v_fmac_f32_e32 v43, 0x3f737871, v82
	v_fmac_f32_e32 v83, 0xbf167918, v84
	v_add_f32_e32 v85, v85, v86
	v_fmac_f32_e32 v43, 0x3f167918, v84
	v_fmac_f32_e32 v17, 0xbe9e377a, v4
	;; [unrolled: 1-line block ×4, first 2 shown]
	v_add_f32_e32 v85, v28, v32
	v_add_f32_e32 v54, v42, v17
	v_sub_f32_e32 v4, v42, v17
	v_add_f32_e32 v42, v0, v28
	v_fma_f32 v0, -0.5, v85, v0
	v_mov_b32_e32 v85, v0
	v_add_f32_e32 v13, v87, v91
	v_sub_f32_e32 v9, v87, v91
	v_fmac_f32_e32 v85, 0x3f737871, v84
	v_sub_f32_e32 v86, v36, v28
	v_sub_f32_e32 v87, v24, v32
	v_fmac_f32_e32 v0, 0xbf737871, v84
	v_add_f32_e32 v84, v37, v25
	v_add_f32_e32 v42, v42, v36
	v_fmac_f32_e32 v85, 0xbf167918, v82
	v_add_f32_e32 v86, v86, v87
	v_fmac_f32_e32 v0, 0x3f167918, v82
	v_fma_f32 v84, -0.5, v84, v1
	v_add_f32_e32 v42, v42, v24
	v_fmac_f32_e32 v85, 0x3e9e377a, v86
	v_fmac_f32_e32 v0, 0x3e9e377a, v86
	v_sub_f32_e32 v28, v28, v32
	v_mov_b32_e32 v86, v84
	v_add_f32_e32 v42, v42, v32
	v_fmac_f32_e32 v86, 0x3f737871, v28
	v_sub_f32_e32 v24, v36, v24
	v_sub_f32_e32 v32, v29, v37
	;; [unrolled: 1-line block ×3, first 2 shown]
	v_fmac_f32_e32 v84, 0xbf737871, v28
	v_fmac_f32_e32 v86, 0x3f167918, v24
	v_add_f32_e32 v32, v32, v36
	v_fmac_f32_e32 v84, 0xbf167918, v24
	v_fmac_f32_e32 v86, 0x3e9e377a, v32
	;; [unrolled: 1-line block ×3, first 2 shown]
	v_add_f32_e32 v32, v29, v33
	v_add_f32_e32 v82, v1, v29
	v_fmac_f32_e32 v1, -0.5, v32
	v_mov_b32_e32 v87, v1
	v_fmac_f32_e32 v87, 0xbf737871, v24
	v_fmac_f32_e32 v1, 0x3f737871, v24
	v_add_f32_e32 v24, v6, v18
	v_add_f32_e32 v24, v24, v22
	;; [unrolled: 1-line block ×5, first 2 shown]
	v_sub_f32_e32 v17, v88, v92
	v_add_f32_e32 v82, v82, v25
	v_sub_f32_e32 v29, v37, v29
	v_sub_f32_e32 v25, v25, v33
	v_add_f32_e32 v88, v24, v14
	v_add_f32_e32 v24, v22, v10
	;; [unrolled: 1-line block ×3, first 2 shown]
	v_sub_f32_e32 v21, v89, v93
	v_fmac_f32_e32 v87, 0x3f167918, v28
	v_add_f32_e32 v25, v29, v25
	v_fmac_f32_e32 v1, 0xbf167918, v28
	v_fma_f32 v89, -0.5, v24, v6
	v_fmac_f32_e32 v87, 0x3e9e377a, v25
	v_fmac_f32_e32 v1, 0x3e9e377a, v25
	v_sub_f32_e32 v24, v19, v15
	v_mov_b32_e32 v25, v89
	v_fmac_f32_e32 v25, 0xbf737871, v24
	v_sub_f32_e32 v28, v23, v11
	v_sub_f32_e32 v29, v18, v22
	;; [unrolled: 1-line block ×3, first 2 shown]
	v_fmac_f32_e32 v89, 0x3f737871, v24
	v_fmac_f32_e32 v25, 0xbf167918, v28
	v_add_f32_e32 v29, v29, v32
	v_fmac_f32_e32 v89, 0x3f167918, v28
	v_fmac_f32_e32 v25, 0x3e9e377a, v29
	;; [unrolled: 1-line block ×3, first 2 shown]
	v_add_f32_e32 v29, v18, v14
	v_fma_f32 v6, -0.5, v29, v6
	v_mov_b32_e32 v29, v6
	v_fmac_f32_e32 v29, 0x3f737871, v28
	v_fmac_f32_e32 v6, 0xbf737871, v28
	;; [unrolled: 1-line block ×4, first 2 shown]
	v_add_f32_e32 v24, v7, v19
	v_add_f32_e32 v24, v24, v23
	v_add_f32_e32 v24, v24, v11
	v_add_f32_e32 v90, v24, v15
	v_add_f32_e32 v24, v23, v11
	v_fma_f32 v91, -0.5, v24, v7
	v_add_f32_e32 v82, v82, v33
	v_sub_f32_e32 v33, v10, v14
	v_sub_f32_e32 v14, v18, v14
	v_mov_b32_e32 v37, v91
	v_sub_f32_e32 v32, v22, v18
	v_fmac_f32_e32 v37, 0x3f737871, v14
	v_sub_f32_e32 v10, v22, v10
	v_sub_f32_e32 v18, v19, v23
	;; [unrolled: 1-line block ×3, first 2 shown]
	v_fmac_f32_e32 v91, 0xbf737871, v14
	v_fmac_f32_e32 v37, 0x3f167918, v10
	v_add_f32_e32 v18, v18, v22
	v_fmac_f32_e32 v91, 0xbf167918, v10
	v_fmac_f32_e32 v37, 0x3e9e377a, v18
	;; [unrolled: 1-line block ×3, first 2 shown]
	v_add_f32_e32 v18, v19, v15
	v_fmac_f32_e32 v7, -0.5, v18
	v_mov_b32_e32 v22, v7
	v_fmac_f32_e32 v22, 0xbf737871, v10
	v_sub_f32_e32 v18, v23, v19
	v_sub_f32_e32 v11, v11, v15
	v_fmac_f32_e32 v22, 0x3f167918, v14
	v_add_f32_e32 v11, v18, v11
	v_fmac_f32_e32 v7, 0x3f737871, v10
	v_add_f32_e32 v32, v32, v33
	v_fmac_f32_e32 v22, 0x3e9e377a, v11
	v_fmac_f32_e32 v7, 0xbf167918, v14
	;; [unrolled: 1-line block ×5, first 2 shown]
	v_add_f32_e32 v32, v42, v88
	v_mul_f32_e32 v11, 0xbf737871, v22
	v_mul_f32_e32 v93, 0x3e9e377a, v22
	v_sub_f32_e32 v22, v42, v88
	v_mul_u32_u24_e32 v42, 10, v62
	v_lshl_add_u32 v42, v42, 3, 0
	s_barrier
	ds_write2_b64 v42, v[52:53], v[56:57] offset1:1
	ds_write2_b64 v42, v[44:45], v[48:49] offset0:2 offset1:3
	ds_write2_b64 v42, v[2:3], v[30:31] offset0:4 offset1:5
	;; [unrolled: 1-line block ×4, first 2 shown]
	v_add_u32_e32 v2, 0x1f40, v42
	ds_write2_b64 v2, v[58:59], v[66:67] offset1:1
	v_add_u32_e32 v2, 0x1f50, v42
	ds_write2_b64 v2, v[50:51], v[54:55] offset1:1
	v_add_u32_e32 v2, 0x1f60, v42
	v_mul_f32_e32 v10, 0xbf167918, v37
	v_mul_f32_e32 v92, 0x3f167918, v25
	ds_write2_b64 v2, v[12:13], v[46:47] offset1:1
	v_add_u32_e32 v2, 0x1f70, v42
	v_fmac_f32_e32 v10, 0x3f4f1bbd, v25
	v_mul_f32_e32 v15, 0xbf737871, v7
	v_fmac_f32_e32 v92, 0x3f4f1bbd, v37
	v_mul_f32_e32 v7, 0xbe9e377a, v7
	ds_write2_b64 v2, v[16:17], v[20:21] offset1:1
	v_add_u32_e32 v2, 0x1f80, v42
	v_add_f32_e32 v36, v83, v10
	v_fmac_f32_e32 v11, 0x3e9e377a, v29
	v_fmac_f32_e32 v15, 0xbe9e377a, v6
	v_mul_f32_e32 v23, 0xbf167918, v91
	v_add_f32_e32 v33, v82, v90
	v_add_f32_e32 v37, v86, v92
	v_fmac_f32_e32 v93, 0x3f737871, v29
	v_fmac_f32_e32 v7, 0x3f737871, v6
	v_mul_f32_e32 v91, 0xbf4f1bbd, v91
	ds_write2_b64 v2, v[4:5], v[8:9] offset1:1
	v_add_u32_e32 v2, 0x3e80, v42
	v_add_f32_e32 v24, v85, v11
	v_add_f32_e32 v28, v0, v15
	v_fmac_f32_e32 v23, 0xbf4f1bbd, v89
	v_add_f32_e32 v25, v87, v93
	v_add_f32_e32 v29, v1, v7
	v_fmac_f32_e32 v91, 0x3f167918, v89
	ds_write2_b64 v2, v[32:33], v[36:37] offset1:1
	v_add_u32_e32 v2, 0x3e90, v42
	v_add_f32_e32 v18, v43, v23
	v_add_f32_e32 v19, v84, v91
	v_sub_f32_e32 v6, v43, v23
	v_sub_f32_e32 v23, v82, v90
	ds_write2_b64 v2, v[24:25], v[28:29] offset1:1
	v_add_u32_e32 v2, 0x3ea0, v42
	v_sub_f32_e32 v10, v83, v10
	v_sub_f32_e32 v14, v85, v11
	;; [unrolled: 1-line block ×5, first 2 shown]
	ds_write2_b64 v2, v[18:19], v[22:23] offset1:1
	v_add_u32_e32 v2, 0x3eb0, v42
	v_sub_f32_e32 v1, v1, v7
	v_sub_f32_e32 v7, v84, v91
	ds_write2_b64 v2, v[10:11], v[14:15] offset1:1
	v_add_u32_e32 v2, 0x3ec0, v42
	v_add_u16_e32 v67, 0x64, v62
	ds_write2_b64 v2, v[0:1], v[6:7] offset1:1
	v_mul_lo_u16_sdwa v1, v67, s5 dst_sel:DWORD dst_unused:UNUSED_PAD src0_sel:BYTE_0 src1_sel:DWORD
	v_lshrrev_b16_e32 v93, 11, v1
	v_mul_lo_u16_e32 v1, 10, v93
	v_mov_b32_e32 v0, 4
	v_sub_u16_e32 v94, v67, v1
	v_lshlrev_b32_sdwa v1, v0, v94 dst_sel:DWORD dst_unused:UNUSED_PAD src0_sel:DWORD src1_sel:BYTE_0
	v_add_u32_e32 v82, 0xc8, v62
	s_waitcnt lgkmcnt(0)
	s_barrier
	global_load_dwordx4 v[4:7], v1, s[12:13]
	v_mul_u32_u24_sdwa v1, v82, s4 dst_sel:DWORD dst_unused:UNUSED_PAD src0_sel:WORD_0 src1_sel:DWORD
	v_lshrrev_b32_e32 v89, 19, v1
	v_mul_lo_u16_e32 v1, 10, v89
	v_sub_u16_e32 v91, v82, v1
	v_lshlrev_b32_e32 v1, 4, v91
	global_load_dwordx4 v[12:15], v1, s[12:13]
	v_add_u32_e32 v1, 0x12c, v62
	v_mul_u32_u24_sdwa v8, v1, s4 dst_sel:DWORD dst_unused:UNUSED_PAD src0_sel:WORD_0 src1_sel:DWORD
	v_lshrrev_b32_e32 v90, 19, v8
	v_mul_lo_u16_e32 v8, 10, v90
	v_mul_lo_u16_sdwa v3, v62, s5 dst_sel:DWORD dst_unused:UNUSED_PAD src0_sel:BYTE_0 src1_sel:DWORD
	v_sub_u16_e32 v92, v1, v8
	v_lshlrev_b32_e32 v1, 4, v92
	v_lshrrev_b16_e32 v66, 11, v3
	v_add_u32_e32 v2, 0x190, v62
	global_load_dwordx4 v[20:23], v1, s[12:13]
	v_mul_lo_u16_e32 v1, 10, v66
	v_sub_u16_e32 v101, v62, v1
	v_mul_u32_u24_sdwa v1, v2, s4 dst_sel:DWORD dst_unused:UNUSED_PAD src0_sel:WORD_0 src1_sel:DWORD
	v_lshrrev_b32_e32 v83, 19, v1
	v_mul_lo_u16_e32 v1, 10, v83
	v_sub_u16_e32 v84, v2, v1
	v_lshlrev_b32_e32 v1, 4, v84
	v_lshlrev_b32_sdwa v0, v0, v101 dst_sel:DWORD dst_unused:UNUSED_PAD src0_sel:DWORD src1_sel:BYTE_0
	global_load_dwordx4 v[24:27], v1, s[12:13]
	global_load_dwordx4 v[28:31], v0, s[12:13]
	v_add_u32_e32 v0, 0x1f4, v62
	v_add_u32_e32 v3, 0x2000, v68
	ds_read2_b64 v[16:19], v68 offset1:100
	ds_read2_b32 v[122:123], v75 offset0:208 offset1:209
	ds_read2_b64 v[32:35], v79 offset0:108 offset1:208
	ds_read2_b64 v[36:39], v3 offset0:76 offset1:176
	v_mul_u32_u24_sdwa v3, v0, s4 dst_sel:DWORD dst_unused:UNUSED_PAD src0_sel:WORD_0 src1_sel:DWORD
	v_lshrrev_b32_e32 v85, 19, v3
	v_mul_lo_u16_e32 v3, 10, v85
	v_sub_u16_e32 v86, v0, v3
	v_add_u32_e32 v1, 0x258, v62
	v_lshlrev_b32_e32 v0, 4, v86
	global_load_dwordx4 v[40:43], v0, s[12:13]
	v_mul_u32_u24_sdwa v0, v1, s4 dst_sel:DWORD dst_unused:UNUSED_PAD src0_sel:WORD_0 src1_sel:DWORD
	v_lshrrev_b32_e32 v87, 19, v0
	v_mul_lo_u16_e32 v0, 10, v87
	v_sub_u16_e32 v88, v1, v0
	v_lshlrev_b32_e32 v0, 4, v88
	v_add_u32_e32 v2, 0x2bc, v62
	ds_read2_b64 v[44:47], v72 offset0:52 offset1:152
	ds_read2_b64 v[8:11], v77 offset0:72 offset1:172
	;; [unrolled: 1-line block ×3, first 2 shown]
	global_load_dwordx4 v[52:55], v0, s[12:13]
	ds_read2_b64 v[110:113], v99 offset0:92 offset1:192
	global_load_dwordx4 v[106:109], v106, s[12:13]
	v_add_u32_e32 v0, 0x4400, v68
	ds_read2_b64 v[56:59], v0 offset0:124 offset1:224
	v_mul_u32_u24_sdwa v0, v2, s4 dst_sel:DWORD dst_unused:UNUSED_PAD src0_sel:WORD_0 src1_sel:DWORD
	v_lshrrev_b32_e32 v95, 19, v0
	v_mul_lo_u16_e32 v0, 10, v95
	v_sub_u16_e32 v96, v2, v0
	v_lshlrev_b32_e32 v0, 4, v96
	global_load_dwordx4 v[102:105], v0, s[12:13]
	v_mul_u32_u24_sdwa v99, v100, s4 dst_sel:DWORD dst_unused:UNUSED_PAD src0_sel:WORD_0 src1_sel:DWORD
	v_lshrrev_b32_e32 v99, 19, v99
	v_mul_lo_u16_e32 v114, 10, v99
	v_sub_u16_e32 v100, v100, v114
	v_lshlrev_b32_e32 v114, 4, v100
	global_load_dwordx4 v[114:117], v114, s[12:13]
	ds_read2_b64 v[118:121], v118 offset0:68 offset1:168
	ds_read2_b64 v[0:3], v76 offset0:144 offset1:244
	s_movk_i32 s4, 0x89
	s_waitcnt vmcnt(9) lgkmcnt(7)
	v_mul_f32_e32 v124, v37, v5
	v_mul_f32_e32 v5, v36, v5
	v_fmac_f32_e32 v124, v36, v4
	v_fma_f32 v36, v37, v4, -v5
	s_waitcnt lgkmcnt(6)
	v_mul_f32_e32 v37, v45, v7
	v_mul_f32_e32 v4, v44, v7
	v_fmac_f32_e32 v37, v44, v6
	v_fma_f32 v44, v45, v6, -v4
	s_waitcnt vmcnt(8)
	v_mul_f32_e32 v125, v39, v13
	v_mul_f32_e32 v4, v38, v13
	v_fmac_f32_e32 v125, v38, v12
	v_fma_f32 v38, v39, v12, -v4
	v_mul_f32_e32 v39, v47, v15
	v_mul_f32_e32 v4, v46, v15
	v_fmac_f32_e32 v39, v46, v14
	v_fma_f32 v45, v47, v14, -v4
	s_waitcnt vmcnt(7) lgkmcnt(4)
	v_mul_f32_e32 v5, v48, v21
	v_add_u32_e32 v4, 0x3400, v68
	v_mul_f32_e32 v126, v49, v21
	v_fma_f32 v127, v49, v20, -v5
	s_waitcnt lgkmcnt(2)
	v_mul_f32_e32 v128, v57, v23
	v_mul_f32_e32 v5, v56, v23
	v_fmac_f32_e32 v126, v48, v20
	v_fmac_f32_e32 v128, v56, v22
	v_fma_f32 v129, v57, v22, -v5
	ds_read2_b64 v[20:23], v4 offset0:36 offset1:136
	s_waitcnt vmcnt(5)
	v_mul_f32_e32 v46, v123, v29
	v_mul_f32_e32 v29, v29, v122
	v_fmac_f32_e32 v46, v28, v122
	v_fma_f32 v47, v123, v28, -v29
	v_mul_f32_e32 v48, v35, v31
	v_mul_f32_e32 v28, v34, v31
	;; [unrolled: 1-line block ×3, first 2 shown]
	v_fmac_f32_e32 v48, v34, v30
	v_fma_f32 v30, v35, v30, -v28
	v_mul_f32_e32 v130, v51, v25
	v_fma_f32 v131, v51, v24, -v4
	s_waitcnt vmcnt(4)
	v_mul_f32_e32 v122, v111, v41
	v_mul_f32_e32 v28, v110, v41
	;; [unrolled: 1-line block ×4, first 2 shown]
	v_fmac_f32_e32 v122, v110, v40
	v_fma_f32 v110, v111, v40, -v28
	s_waitcnt lgkmcnt(2)
	v_mul_f32_e32 v111, v119, v43
	v_mul_f32_e32 v28, v118, v43
	ds_read2_b64 v[12:15], v81 offset0:88 offset1:188
	v_fmac_f32_e32 v130, v50, v24
	v_fmac_f32_e32 v132, v58, v26
	v_fma_f32 v133, v59, v26, -v4
	ds_read2_b64 v[24:27], v69 offset0:140 offset1:240
	ds_read2_b64 v[4:7], v74 offset0:32 offset1:132
	v_fmac_f32_e32 v111, v118, v42
	v_fma_f32 v118, v119, v42, -v28
	s_waitcnt vmcnt(3)
	v_mul_f32_e32 v119, v113, v53
	v_mul_f32_e32 v31, v112, v53
	v_fmac_f32_e32 v119, v112, v52
	v_fma_f32 v112, v113, v52, -v31
	v_mul_f32_e32 v113, v121, v55
	v_mul_f32_e32 v31, v120, v55
	v_fmac_f32_e32 v113, v120, v54
	v_fma_f32 v120, v121, v54, -v31
	s_waitcnt vmcnt(1) lgkmcnt(3)
	v_mul_f32_e32 v121, v21, v103
	ds_read_b64 v[28:29], v68 offset:23200
	v_fmac_f32_e32 v121, v20, v102
	v_mul_f32_e32 v20, v20, v103
	v_fma_f32 v102, v21, v102, -v20
	s_waitcnt lgkmcnt(2)
	v_mul_f32_e32 v103, v25, v105
	v_mul_f32_e32 v20, v24, v105
	v_fmac_f32_e32 v103, v24, v104
	v_fma_f32 v104, v25, v104, -v20
	v_mul_f32_e32 v105, v23, v107
	v_mul_f32_e32 v20, v22, v107
	v_fmac_f32_e32 v105, v22, v106
	v_fma_f32 v106, v23, v106, -v20
	;; [unrolled: 4-line block ×3, first 2 shown]
	s_waitcnt vmcnt(0)
	v_mul_f32_e32 v109, v33, v115
	v_mul_f32_e32 v20, v32, v115
	v_fmac_f32_e32 v109, v32, v114
	v_fma_f32 v114, v33, v114, -v20
	s_waitcnt lgkmcnt(0)
	v_mul_f32_e32 v115, v29, v117
	v_mul_f32_e32 v20, v28, v117
	v_fmac_f32_e32 v115, v28, v116
	v_fma_f32 v116, v29, v116, -v20
	v_add_f32_e32 v20, v16, v46
	v_add_f32_e32 v56, v20, v48
	v_add_f32_e32 v20, v46, v48
	v_fma_f32 v52, -0.5, v20, v16
	v_sub_f32_e32 v16, v47, v30
	v_mov_b32_e32 v58, v52
	v_fmac_f32_e32 v58, 0xbf5db3d7, v16
	v_fmac_f32_e32 v52, 0x3f5db3d7, v16
	v_add_f32_e32 v16, v17, v47
	v_add_f32_e32 v57, v16, v30
	v_add_f32_e32 v16, v47, v30
	v_fma_f32 v53, -0.5, v16, v17
	v_sub_f32_e32 v16, v46, v48
	v_mov_b32_e32 v59, v53
	v_fmac_f32_e32 v59, 0x3f5db3d7, v16
	v_fmac_f32_e32 v53, 0xbf5db3d7, v16
	v_add_f32_e32 v16, v18, v124
	v_add_f32_e32 v50, v16, v37
	v_add_f32_e32 v16, v124, v37
	v_fma_f32 v18, -0.5, v16, v18
	v_sub_f32_e32 v16, v36, v44
	v_mov_b32_e32 v54, v18
	v_fmac_f32_e32 v54, 0xbf5db3d7, v16
	v_fmac_f32_e32 v18, 0x3f5db3d7, v16
	v_add_f32_e32 v16, v19, v36
	v_add_f32_e32 v51, v16, v44
	v_add_f32_e32 v16, v36, v44
	v_fmac_f32_e32 v19, -0.5, v16
	v_sub_f32_e32 v16, v124, v37
	v_mov_b32_e32 v55, v19
	v_fmac_f32_e32 v55, 0x3f5db3d7, v16
	v_fmac_f32_e32 v19, 0xbf5db3d7, v16
	v_add_f32_e32 v16, v8, v125
	v_add_f32_e32 v46, v16, v39
	v_add_f32_e32 v16, v125, v39
	v_fma_f32 v44, -0.5, v16, v8
	v_sub_f32_e32 v8, v38, v45
	v_mov_b32_e32 v48, v44
	v_fmac_f32_e32 v48, 0xbf5db3d7, v8
	v_fmac_f32_e32 v44, 0x3f5db3d7, v8
	v_add_f32_e32 v8, v9, v38
	v_add_f32_e32 v47, v8, v45
	v_add_f32_e32 v8, v38, v45
	v_fma_f32 v45, -0.5, v8, v9
	v_sub_f32_e32 v8, v125, v39
	v_mov_b32_e32 v49, v45
	v_fmac_f32_e32 v49, 0x3f5db3d7, v8
	v_fmac_f32_e32 v45, 0xbf5db3d7, v8
	v_add_f32_e32 v8, v10, v126
	v_add_f32_e32 v40, v8, v128
	v_add_f32_e32 v8, v126, v128
	v_fma_f32 v10, -0.5, v8, v10
	v_sub_f32_e32 v8, v127, v129
	v_mov_b32_e32 v42, v10
	v_fmac_f32_e32 v42, 0xbf5db3d7, v8
	v_fmac_f32_e32 v10, 0x3f5db3d7, v8
	v_add_f32_e32 v8, v11, v127
	v_add_f32_e32 v41, v8, v129
	v_add_f32_e32 v8, v127, v129
	v_fmac_f32_e32 v11, -0.5, v8
	v_sub_f32_e32 v8, v126, v128
	v_mov_b32_e32 v43, v11
	v_fmac_f32_e32 v43, 0x3f5db3d7, v8
	v_fmac_f32_e32 v11, 0xbf5db3d7, v8
	;; [unrolled: 32-line block ×4, first 2 shown]
	v_add_f32_e32 v0, v4, v105
	v_add_f32_e32 v12, v0, v107
	;; [unrolled: 1-line block ×3, first 2 shown]
	v_fma_f32 v8, -0.5, v0, v4
	v_sub_f32_e32 v0, v106, v108
	v_mov_b32_e32 v16, v8
	v_fmac_f32_e32 v16, 0xbf5db3d7, v0
	v_fmac_f32_e32 v8, 0x3f5db3d7, v0
	v_add_f32_e32 v0, v5, v106
	v_add_f32_e32 v13, v0, v108
	;; [unrolled: 1-line block ×3, first 2 shown]
	v_fma_f32 v9, -0.5, v0, v5
	v_sub_f32_e32 v0, v105, v107
	v_mov_b32_e32 v17, v9
	v_add_f32_e32 v1, v109, v115
	v_fmac_f32_e32 v17, 0x3f5db3d7, v0
	v_fmac_f32_e32 v9, 0xbf5db3d7, v0
	v_add_f32_e32 v0, v6, v109
	v_fma_f32 v6, -0.5, v1, v6
	v_sub_f32_e32 v1, v114, v116
	v_mov_b32_e32 v4, v6
	v_add_f32_e32 v5, v114, v116
	v_fmac_f32_e32 v4, 0xbf5db3d7, v1
	v_fmac_f32_e32 v6, 0x3f5db3d7, v1
	v_add_f32_e32 v1, v7, v114
	v_fmac_f32_e32 v7, -0.5, v5
	v_sub_f32_e32 v102, v109, v115
	v_mov_b32_e32 v5, v7
	v_fmac_f32_e32 v5, 0x3f5db3d7, v102
	v_fmac_f32_e32 v7, 0xbf5db3d7, v102
	v_mul_u32_u24_e32 v102, 0xf0, v66
	v_mov_b32_e32 v66, 3
	v_lshlrev_b32_sdwa v101, v66, v101 dst_sel:DWORD dst_unused:UNUSED_PAD src0_sel:DWORD src1_sel:BYTE_0
	v_add3_u32 v101, 0, v102, v101
	s_barrier
	ds_write2_b64 v101, v[56:57], v[58:59] offset1:10
	ds_write_b64 v101, v[52:53] offset:160
	v_mul_u32_u24_e32 v52, 0xf0, v93
	v_lshlrev_b32_sdwa v53, v66, v94 dst_sel:DWORD dst_unused:UNUSED_PAD src0_sel:DWORD src1_sel:BYTE_0
	v_add3_u32 v52, 0, v52, v53
	ds_write2_b64 v52, v[50:51], v[54:55] offset1:10
	ds_write_b64 v52, v[18:19] offset:160
	v_mul_u32_u24_e32 v18, 0xf0, v89
	v_lshlrev_b32_e32 v19, 3, v91
	v_add3_u32 v18, 0, v18, v19
	ds_write2_b64 v18, v[46:47], v[48:49] offset1:10
	ds_write_b64 v18, v[44:45] offset:160
	v_mul_u32_u24_e32 v18, 0xf0, v90
	v_lshlrev_b32_e32 v19, 3, v92
	;; [unrolled: 5-line block ×8, first 2 shown]
	v_add_f32_e32 v0, v0, v115
	v_add_f32_e32 v1, v1, v116
	v_add3_u32 v2, 0, v2, v3
	ds_write2_b64 v2, v[0:1], v[4:5] offset1:10
	ds_write_b64 v2, v[6:7] offset:160
	v_mul_lo_u16_sdwa v0, v62, s4 dst_sel:DWORD dst_unused:UNUSED_PAD src0_sel:BYTE_0 src1_sel:DWORD
	v_lshrrev_b16_e32 v85, 12, v0
	v_mul_lo_u16_e32 v0, 30, v85
	v_sub_u16_e32 v86, v62, v0
	v_mov_b32_e32 v0, 9
	v_mul_u32_u24_sdwa v1, v86, v0 dst_sel:DWORD dst_unused:UNUSED_PAD src0_sel:BYTE_0 src1_sel:DWORD
	v_lshlrev_b32_e32 v1, 3, v1
	s_waitcnt lgkmcnt(0)
	s_barrier
	global_load_dwordx4 v[13:16], v1, s[12:13] offset:160
	global_load_dwordx4 v[17:20], v1, s[12:13] offset:176
	;; [unrolled: 1-line block ×4, first 2 shown]
	v_mul_lo_u16_sdwa v2, v67, s4 dst_sel:DWORD dst_unused:UNUSED_PAD src0_sel:BYTE_0 src1_sel:DWORD
	v_lshrrev_b16_e32 v84, 12, v2
	v_mul_lo_u16_e32 v2, 30, v84
	v_sub_u16_e32 v83, v67, v2
	v_mul_u32_u24_sdwa v0, v83, v0 dst_sel:DWORD dst_unused:UNUSED_PAD src0_sel:BYTE_0 src1_sel:DWORD
	v_lshlrev_b32_e32 v31, 3, v0
	global_load_dwordx4 v[25:28], v31, s[12:13] offset:160
	global_load_dwordx4 v[35:38], v31, s[12:13] offset:176
	;; [unrolled: 1-line block ×3, first 2 shown]
	global_load_dwordx2 v[91:92], v1, s[12:13] offset:224
	s_mov_b32 s4, 0x8889
	ds_read2_b64 v[4:7], v68 offset1:100
	ds_read2_b64 v[0:3], v77 offset0:72 offset1:172
	ds_read2_b64 v[43:46], v81 offset0:88 offset1:188
	ds_read2_b32 v[29:30], v75 offset0:8 offset1:9
	ds_read2_b64 v[47:50], v80 offset0:48 offset1:148
	global_load_dwordx4 v[51:54], v31, s[12:13] offset:208
	ds_read2_b64 v[55:58], v71 offset0:120 offset1:220
	ds_read2_b64 v[87:90], v79 offset0:8 offset1:108
	ds_read2_b64 v[94:97], v63 offset0:80 offset1:180
	ds_read2_b64 v[98:101], v78 offset0:96 offset1:196
	ds_read2_b64 v[102:105], v69 offset0:40 offset1:140
	ds_read2_b64 v[106:109], v76 offset0:144 offset1:244
	global_load_dwordx2 v[134:135], v31, s[12:13] offset:224
	v_mul_u32_u24_sdwa v31, v82, s4 dst_sel:DWORD dst_unused:UNUSED_PAD src0_sel:WORD_0 src1_sel:DWORD
	v_lshrrev_b32_e32 v67, 20, v31
	v_mul_lo_u16_e32 v31, 30, v67
	v_sub_u16_e32 v82, v82, v31
	v_mul_u32_u24_e32 v31, 9, v82
	v_lshlrev_b32_e32 v31, 3, v31
	global_load_dwordx4 v[110:113], v31, s[12:13] offset:176
	global_load_dwordx4 v[114:117], v31, s[12:13] offset:160
	;; [unrolled: 1-line block ×4, first 2 shown]
	ds_read2_b64 v[126:129], v73 offset0:64 offset1:164
	ds_read2_b64 v[130:133], v70 offset0:112 offset1:212
	v_mul_u32_u24_e32 v85, 0x960, v85
	v_lshlrev_b32_sdwa v86, v66, v86 dst_sel:DWORD dst_unused:UNUSED_PAD src0_sel:DWORD src1_sel:BYTE_0
	v_add3_u32 v85, 0, v85, v86
	s_movk_i32 s4, 0x1c20
	s_waitcnt vmcnt(13) lgkmcnt(11)
	v_mul_f32_e32 v12, v14, v3
	v_fmac_f32_e32 v12, v13, v2
	v_mul_f32_e32 v2, v14, v2
	v_fma_f32 v13, v13, v3, -v2
	s_waitcnt lgkmcnt(10)
	v_mul_f32_e32 v2, v16, v43
	v_fma_f32 v136, v15, v44, -v2
	s_waitcnt vmcnt(12) lgkmcnt(9)
	v_mul_f32_e32 v2, v18, v29
	v_mul_f32_e32 v32, v30, v18
	v_fma_f32 v18, v30, v17, -v2
	s_waitcnt lgkmcnt(8)
	v_mul_f32_e32 v2, v47, v20
	v_mul_f32_e32 v137, v48, v20
	v_fma_f32 v48, v48, v19, -v2
	s_waitcnt vmcnt(11) lgkmcnt(7)
	v_mul_f32_e32 v33, v58, v22
	v_mul_f32_e32 v2, v57, v22
	v_fmac_f32_e32 v33, v57, v21
	v_fma_f32 v20, v58, v21, -v2
	global_load_dwordx2 v[57:58], v31, s[12:13] offset:224
	s_waitcnt lgkmcnt(6)
	v_mul_f32_e32 v2, v87, v24
	v_fma_f32 v139, v88, v23, -v2
	s_waitcnt vmcnt(11) lgkmcnt(5)
	v_mul_f32_e32 v2, v96, v9
	v_mul_f32_e32 v34, v97, v9
	v_fma_f32 v22, v97, v8, -v2
	s_waitcnt lgkmcnt(4)
	v_mul_f32_e32 v140, v99, v11
	v_mul_f32_e32 v2, v98, v11
	v_fmac_f32_e32 v34, v96, v8
	v_fmac_f32_e32 v140, v98, v10
	v_fma_f32 v141, v99, v10, -v2
	ds_read2_b64 v[96:99], v75 offset0:104 offset1:204
	s_waitcnt vmcnt(10)
	v_mul_f32_e32 v2, v45, v28
	v_fmac_f32_e32 v32, v17, v29
	v_fma_f32 v29, v46, v27, -v2
	s_waitcnt lgkmcnt(3)
	v_mul_f32_e32 v2, v106, v26
	v_mul_f32_e32 v138, v88, v24
	;; [unrolled: 1-line block ×3, first 2 shown]
	v_fma_f32 v17, v107, v25, -v2
	s_waitcnt vmcnt(9)
	v_mul_f32_e32 v2, v49, v38
	v_fmac_f32_e32 v138, v87, v23
	v_fmac_f32_e32 v31, v45, v27
	v_mul_f32_e32 v45, v50, v38
	v_fma_f32 v30, v50, v37, -v2
	s_waitcnt lgkmcnt(0)
	v_mul_f32_e32 v23, v97, v36
	v_mul_f32_e32 v2, v96, v36
	v_fmac_f32_e32 v137, v47, v19
	v_fmac_f32_e32 v45, v49, v37
	;; [unrolled: 1-line block ×3, first 2 shown]
	v_fma_f32 v19, v97, v35, -v2
	ds_read2_b64 v[35:38], v72 offset0:152 offset1:252
	s_waitcnt vmcnt(8)
	v_mul_f32_e32 v2, v89, v42
	v_mul_f32_e32 v59, v16, v44
	v_fma_f32 v44, v90, v41, -v2
	v_mul_f32_e32 v2, v126, v40
	v_fma_f32 v21, v127, v39, -v2
	s_waitcnt vmcnt(6)
	v_mul_f32_e32 v2, v100, v54
	v_fmac_f32_e32 v59, v15, v43
	v_fma_f32 v46, v101, v53, -v2
	v_mul_f32_e32 v2, v104, v92
	s_waitcnt lgkmcnt(0)
	v_mul_f32_e32 v27, v36, v52
	v_fma_f32 v49, v105, v91, -v2
	v_fmac_f32_e32 v27, v35, v51
	v_mul_f32_e32 v2, v35, v52
	v_add_f32_e32 v35, v4, v59
	v_add_f32_e32 v35, v35, v137
	v_mul_f32_e32 v16, v107, v26
	v_add_f32_e32 v35, v35, v138
	v_fmac_f32_e32 v16, v106, v25
	v_fma_f32 v25, v36, v51, -v2
	s_waitcnt vmcnt(1)
	v_mul_f32_e32 v11, v94, v125
	v_add_f32_e32 v36, v35, v140
	v_add_f32_e32 v35, v137, v138
	v_mul_f32_e32 v24, v127, v40
	v_fma_f32 v88, v95, v124, -v11
	v_mul_f32_e32 v40, v38, v119
	v_mul_f32_e32 v11, v37, v119
	v_fma_f32 v35, -0.5, v35, v4
	v_fmac_f32_e32 v40, v37, v118
	v_fma_f32 v11, v38, v118, -v11
	v_sub_f32_e32 v38, v136, v141
	v_mov_b32_e32 v37, v35
	v_fmac_f32_e32 v37, 0xbf737871, v38
	v_sub_f32_e32 v50, v48, v139
	v_sub_f32_e32 v51, v59, v137
	;; [unrolled: 1-line block ×3, first 2 shown]
	v_fmac_f32_e32 v35, 0x3f737871, v38
	v_fmac_f32_e32 v37, 0xbf167918, v50
	v_add_f32_e32 v51, v51, v52
	v_fmac_f32_e32 v35, 0x3f167918, v50
	v_fmac_f32_e32 v37, 0x3e9e377a, v51
	;; [unrolled: 1-line block ×3, first 2 shown]
	v_add_f32_e32 v51, v59, v140
	v_mul_f32_e32 v93, v101, v54
	v_fma_f32 v4, -0.5, v51, v4
	v_fmac_f32_e32 v93, v100, v53
	v_mov_b32_e32 v53, v4
	v_fmac_f32_e32 v53, 0x3f737871, v50
	v_fmac_f32_e32 v4, 0xbf737871, v50
	;; [unrolled: 1-line block ×4, first 2 shown]
	v_add_f32_e32 v38, v5, v136
	v_fmac_f32_e32 v24, v126, v39
	v_mul_f32_e32 v39, v105, v92
	v_add_f32_e32 v38, v38, v48
	v_fmac_f32_e32 v39, v104, v91
	v_mul_f32_e32 v91, v95, v125
	v_add_f32_e32 v38, v38, v139
	v_fmac_f32_e32 v91, v94, v124
	v_add_f32_e32 v94, v38, v141
	v_add_f32_e32 v38, v48, v139
	v_sub_f32_e32 v51, v137, v59
	v_sub_f32_e32 v52, v138, v140
	v_fma_f32 v95, -0.5, v38, v5
	v_add_f32_e32 v51, v51, v52
	v_sub_f32_e32 v38, v59, v140
	v_mov_b32_e32 v96, v95
	v_fmac_f32_e32 v53, 0x3e9e377a, v51
	v_fmac_f32_e32 v4, 0x3e9e377a, v51
	;; [unrolled: 1-line block ×3, first 2 shown]
	v_sub_f32_e32 v50, v137, v138
	v_sub_f32_e32 v51, v136, v48
	;; [unrolled: 1-line block ×3, first 2 shown]
	v_fmac_f32_e32 v95, 0xbf737871, v38
	v_fmac_f32_e32 v96, 0x3f167918, v50
	v_add_f32_e32 v51, v51, v52
	v_fmac_f32_e32 v95, 0xbf167918, v50
	v_fmac_f32_e32 v96, 0x3e9e377a, v51
	;; [unrolled: 1-line block ×3, first 2 shown]
	v_add_f32_e32 v51, v136, v141
	ds_read_b64 v[8:9], v68 offset:6400
	v_fma_f32 v5, -0.5, v51, v5
	v_mov_b32_e32 v97, v5
	v_fmac_f32_e32 v97, 0xbf737871, v50
	v_sub_f32_e32 v48, v48, v136
	v_sub_f32_e32 v51, v139, v141
	v_fmac_f32_e32 v5, 0x3f737871, v50
	v_fmac_f32_e32 v97, 0x3f167918, v38
	v_add_f32_e32 v48, v48, v51
	v_fmac_f32_e32 v5, 0xbf167918, v38
	v_fmac_f32_e32 v97, 0x3e9e377a, v48
	;; [unrolled: 1-line block ×3, first 2 shown]
	v_add_f32_e32 v48, v33, v34
	v_mul_f32_e32 v47, v90, v42
	s_waitcnt lgkmcnt(0)
	v_mul_f32_e32 v87, v9, v117
	v_fma_f32 v52, -0.5, v48, v12
	v_fmac_f32_e32 v47, v89, v41
	v_fmac_f32_e32 v87, v8, v116
	v_mul_f32_e32 v8, v8, v117
	v_mul_f32_e32 v89, v56, v113
	v_sub_f32_e32 v48, v18, v49
	v_mov_b32_e32 v51, v52
	v_fma_f32 v42, v9, v116, -v8
	v_fmac_f32_e32 v89, v55, v112
	v_mul_f32_e32 v9, v55, v113
	v_fmac_f32_e32 v51, 0xbf737871, v48
	v_sub_f32_e32 v50, v20, v22
	v_sub_f32_e32 v54, v32, v33
	;; [unrolled: 1-line block ×3, first 2 shown]
	v_fmac_f32_e32 v52, 0x3f737871, v48
	v_fmac_f32_e32 v51, 0xbf167918, v50
	v_add_f32_e32 v54, v54, v55
	v_fmac_f32_e32 v52, 0x3f167918, v50
	v_fmac_f32_e32 v51, 0x3e9e377a, v54
	;; [unrolled: 1-line block ×3, first 2 shown]
	v_add_f32_e32 v54, v32, v39
	v_add_f32_e32 v38, v12, v32
	v_fmac_f32_e32 v12, -0.5, v54
	v_mov_b32_e32 v55, v12
	v_fmac_f32_e32 v55, 0x3f737871, v50
	v_fmac_f32_e32 v12, 0xbf737871, v50
	;; [unrolled: 1-line block ×4, first 2 shown]
	v_add_f32_e32 v48, v13, v18
	v_add_f32_e32 v48, v48, v20
	v_mul_f32_e32 v10, v99, v111
	v_add_f32_e32 v48, v48, v22
	v_fmac_f32_e32 v10, v98, v110
	v_mul_f32_e32 v8, v98, v111
	v_add_f32_e32 v38, v38, v33
	v_add_f32_e32 v98, v48, v49
	;; [unrolled: 1-line block ×3, first 2 shown]
	v_fma_f32 v8, v99, v110, -v8
	v_add_f32_e32 v38, v38, v34
	v_fma_f32 v99, -0.5, v48, v13
	v_fma_f32 v43, v56, v112, -v9
	v_add_f32_e32 v38, v38, v39
	v_sub_f32_e32 v54, v33, v32
	v_sub_f32_e32 v56, v34, v39
	;; [unrolled: 1-line block ×3, first 2 shown]
	v_mov_b32_e32 v39, v99
	v_fmac_f32_e32 v39, 0x3f737871, v32
	v_sub_f32_e32 v33, v33, v34
	v_sub_f32_e32 v34, v18, v20
	;; [unrolled: 1-line block ×3, first 2 shown]
	v_fmac_f32_e32 v99, 0xbf737871, v32
	v_fmac_f32_e32 v39, 0x3f167918, v33
	v_add_f32_e32 v34, v34, v48
	v_fmac_f32_e32 v99, 0xbf167918, v33
	v_fmac_f32_e32 v39, 0x3e9e377a, v34
	;; [unrolled: 1-line block ×3, first 2 shown]
	v_add_f32_e32 v34, v18, v49
	v_fmac_f32_e32 v13, -0.5, v34
	v_mov_b32_e32 v34, v13
	v_sub_f32_e32 v18, v20, v18
	v_sub_f32_e32 v20, v22, v49
	v_fmac_f32_e32 v13, 0x3f737871, v33
	v_fmac_f32_e32 v34, 0xbf737871, v33
	v_add_f32_e32 v18, v18, v20
	v_fmac_f32_e32 v13, 0xbf167918, v32
	v_add_f32_e32 v54, v54, v56
	v_fmac_f32_e32 v34, 0x3f167918, v32
	v_fmac_f32_e32 v13, 0x3e9e377a, v18
	;; [unrolled: 1-line block ×4, first 2 shown]
	v_mul_f32_e32 v22, 0xbf737871, v13
	v_mul_f32_e32 v33, 0xbf167918, v99
	;; [unrolled: 1-line block ×3, first 2 shown]
	v_fmac_f32_e32 v55, 0x3e9e377a, v54
	v_mul_f32_e32 v20, 0xbf737871, v34
	v_fmac_f32_e32 v33, 0xbf4f1bbd, v52
	v_mul_f32_e32 v100, 0x3e9e377a, v34
	v_fmac_f32_e32 v13, 0x3f737871, v12
	v_fmac_f32_e32 v20, 0x3e9e377a, v55
	;; [unrolled: 1-line block ×3, first 2 shown]
	v_add_f32_e32 v48, v35, v33
	v_fmac_f32_e32 v100, 0x3f737871, v55
	v_add_f32_e32 v55, v5, v13
	v_mul_f32_e32 v12, 0xbf4f1bbd, v99
	v_sub_f32_e32 v34, v35, v33
	v_sub_f32_e32 v33, v5, v13
	v_add_f32_e32 v5, v45, v47
	v_mul_f32_e32 v18, 0xbf167918, v39
	v_fmac_f32_e32 v12, 0x3f167918, v52
	v_fma_f32 v5, -0.5, v5, v6
	v_mul_f32_e32 v15, v102, v121
	v_fmac_f32_e32 v18, 0x3f4f1bbd, v51
	v_add_f32_e32 v49, v95, v12
	v_sub_f32_e32 v35, v95, v12
	v_sub_f32_e32 v12, v29, v46
	v_mov_b32_e32 v13, v5
	v_fma_f32 v90, v103, v120, -v15
	s_waitcnt vmcnt(0)
	v_mul_f32_e32 v41, v133, v58
	v_mul_f32_e32 v15, v132, v58
	v_add_f32_e32 v56, v36, v38
	v_add_f32_e32 v58, v37, v18
	;; [unrolled: 1-line block ×4, first 2 shown]
	v_sub_f32_e32 v52, v36, v38
	v_sub_f32_e32 v36, v37, v18
	;; [unrolled: 1-line block ×4, first 2 shown]
	v_fmac_f32_e32 v13, 0xbf737871, v12
	v_sub_f32_e32 v18, v30, v44
	v_sub_f32_e32 v20, v31, v45
	v_sub_f32_e32 v22, v93, v47
	v_fmac_f32_e32 v5, 0x3f737871, v12
	v_fmac_f32_e32 v13, 0xbf167918, v18
	v_add_f32_e32 v20, v20, v22
	v_fmac_f32_e32 v5, 0x3f167918, v18
	v_fmac_f32_e32 v13, 0x3e9e377a, v20
	;; [unrolled: 1-line block ×3, first 2 shown]
	v_add_f32_e32 v20, v31, v93
	v_add_f32_e32 v4, v6, v31
	v_fma_f32 v6, -0.5, v20, v6
	v_fmac_f32_e32 v41, v132, v57
	v_fma_f32 v15, v133, v57, -v15
	v_add_f32_e32 v57, v94, v98
	v_sub_f32_e32 v53, v94, v98
	v_mov_b32_e32 v94, v6
	v_add_f32_e32 v4, v4, v45
	v_fmac_f32_e32 v94, 0x3f737871, v18
	v_fmac_f32_e32 v6, 0xbf737871, v18
	v_add_f32_e32 v18, v30, v44
	v_add_f32_e32 v4, v4, v47
	v_sub_f32_e32 v20, v45, v31
	v_sub_f32_e32 v22, v47, v93
	v_fma_f32 v95, -0.5, v18, v7
	v_add_f32_e32 v4, v4, v93
	v_fmac_f32_e32 v94, 0xbf167918, v12
	v_add_f32_e32 v20, v20, v22
	v_fmac_f32_e32 v6, 0x3f167918, v12
	v_sub_f32_e32 v18, v31, v93
	v_mov_b32_e32 v93, v95
	v_fmac_f32_e32 v94, 0x3e9e377a, v20
	v_fmac_f32_e32 v6, 0x3e9e377a, v20
	;; [unrolled: 1-line block ×3, first 2 shown]
	v_sub_f32_e32 v20, v45, v47
	v_sub_f32_e32 v22, v29, v30
	;; [unrolled: 1-line block ×3, first 2 shown]
	v_fmac_f32_e32 v95, 0xbf737871, v18
	v_fmac_f32_e32 v93, 0x3f167918, v20
	v_add_f32_e32 v22, v22, v31
	v_fmac_f32_e32 v95, 0xbf167918, v20
	v_mul_f32_e32 v39, 0x3f4f1bbd, v39
	v_fmac_f32_e32 v93, 0x3e9e377a, v22
	v_fmac_f32_e32 v95, 0x3e9e377a, v22
	v_add_f32_e32 v22, v29, v46
	v_fmac_f32_e32 v39, 0x3f167918, v51
	v_add_f32_e32 v12, v7, v29
	v_fmac_f32_e32 v7, -0.5, v22
	v_add_f32_e32 v59, v96, v39
	v_sub_f32_e32 v37, v96, v39
	v_mov_b32_e32 v96, v7
	v_fmac_f32_e32 v96, 0xbf737871, v20
	v_sub_f32_e32 v22, v30, v29
	v_sub_f32_e32 v29, v44, v46
	v_fmac_f32_e32 v7, 0x3f737871, v20
	v_mul_f32_e32 v2, v130, v135
	v_fmac_f32_e32 v96, 0x3f167918, v18
	v_add_f32_e32 v22, v22, v29
	v_fmac_f32_e32 v7, 0xbf167918, v18
	v_add_f32_e32 v20, v24, v27
	v_mul_f32_e32 v28, v131, v135
	v_fma_f32 v26, v131, v134, -v2
	v_fmac_f32_e32 v96, 0x3e9e377a, v22
	v_fmac_f32_e32 v7, 0x3e9e377a, v22
	v_fma_f32 v22, -0.5, v20, v16
	v_fmac_f32_e32 v28, v130, v134
	v_add_f32_e32 v12, v12, v30
	v_sub_f32_e32 v20, v19, v26
	v_mov_b32_e32 v29, v22
	v_add_f32_e32 v12, v12, v44
	v_fmac_f32_e32 v29, 0xbf737871, v20
	v_sub_f32_e32 v30, v21, v25
	v_sub_f32_e32 v31, v23, v24
	;; [unrolled: 1-line block ×3, first 2 shown]
	v_fmac_f32_e32 v22, 0x3f737871, v20
	v_fmac_f32_e32 v29, 0xbf167918, v30
	v_add_f32_e32 v31, v31, v44
	v_fmac_f32_e32 v22, 0x3f167918, v30
	v_fmac_f32_e32 v29, 0x3e9e377a, v31
	;; [unrolled: 1-line block ×3, first 2 shown]
	v_add_f32_e32 v31, v23, v28
	v_add_f32_e32 v18, v16, v23
	v_fmac_f32_e32 v16, -0.5, v31
	v_mov_b32_e32 v31, v16
	v_fmac_f32_e32 v31, 0x3f737871, v30
	v_fmac_f32_e32 v16, 0xbf737871, v30
	;; [unrolled: 1-line block ×4, first 2 shown]
	v_add_f32_e32 v20, v17, v19
	v_add_f32_e32 v20, v20, v21
	;; [unrolled: 1-line block ×4, first 2 shown]
	v_sub_f32_e32 v39, v97, v100
	v_add_f32_e32 v97, v20, v26
	v_add_f32_e32 v20, v21, v25
	;; [unrolled: 1-line block ×3, first 2 shown]
	v_fma_f32 v98, -0.5, v20, v17
	v_add_f32_e32 v18, v18, v27
	v_sub_f32_e32 v44, v24, v23
	v_sub_f32_e32 v20, v23, v28
	v_mov_b32_e32 v23, v98
	v_add_f32_e32 v18, v18, v28
	v_sub_f32_e32 v45, v27, v28
	v_fmac_f32_e32 v23, 0x3f737871, v20
	v_sub_f32_e32 v24, v24, v27
	v_sub_f32_e32 v27, v19, v21
	;; [unrolled: 1-line block ×3, first 2 shown]
	v_fmac_f32_e32 v98, 0xbf737871, v20
	v_fmac_f32_e32 v23, 0x3f167918, v24
	v_add_f32_e32 v27, v27, v28
	v_fmac_f32_e32 v98, 0xbf167918, v24
	v_fmac_f32_e32 v23, 0x3e9e377a, v27
	;; [unrolled: 1-line block ×3, first 2 shown]
	v_add_f32_e32 v27, v19, v26
	v_fmac_f32_e32 v17, -0.5, v27
	v_mov_b32_e32 v27, v17
	v_sub_f32_e32 v19, v21, v19
	v_sub_f32_e32 v21, v25, v26
	v_fmac_f32_e32 v17, 0x3f737871, v24
	v_add_f32_e32 v44, v44, v45
	v_add_f32_e32 v19, v19, v21
	v_fmac_f32_e32 v17, 0xbf167918, v20
	v_fmac_f32_e32 v31, 0x3e9e377a, v44
	;; [unrolled: 1-line block ×5, first 2 shown]
	v_add_f32_e32 v44, v4, v18
	v_sub_f32_e32 v26, v4, v18
	v_add_f32_e32 v4, v0, v87
	v_mul_f32_e32 v92, v103, v121
	v_fmac_f32_e32 v27, 0x3f167918, v20
	v_mul_f32_e32 v25, 0xbf737871, v17
	v_add_f32_e32 v4, v4, v89
	v_fmac_f32_e32 v92, v102, v120
	v_fmac_f32_e32 v27, 0x3e9e377a, v19
	v_fmac_f32_e32 v25, 0xbe9e377a, v16
	v_mul_f32_e32 v17, 0xbe9e377a, v17
	v_add_f32_e32 v4, v4, v91
	v_mul_f32_e32 v19, 0xbf167918, v23
	v_mul_f32_e32 v24, 0xbf737871, v27
	v_add_f32_e32 v30, v6, v25
	v_mul_f32_e32 v23, 0x3f4f1bbd, v23
	v_mul_f32_e32 v100, 0x3e9e377a, v27
	v_fmac_f32_e32 v17, 0x3f737871, v16
	v_sub_f32_e32 v16, v6, v25
	v_add_f32_e32 v6, v4, v92
	v_add_f32_e32 v4, v89, v91
	v_fmac_f32_e32 v24, 0x3e9e377a, v31
	v_mul_f32_e32 v99, 0xbf167918, v98
	v_fmac_f32_e32 v23, 0x3f167918, v29
	v_fmac_f32_e32 v100, 0x3f737871, v31
	v_add_f32_e32 v31, v7, v17
	v_sub_f32_e32 v17, v7, v17
	v_fma_f32 v7, -0.5, v4, v0
	v_add_f32_e32 v12, v12, v46
	v_fmac_f32_e32 v19, 0x3f4f1bbd, v29
	v_fmac_f32_e32 v99, 0xbf4f1bbd, v22
	v_add_f32_e32 v47, v93, v23
	v_mul_f32_e32 v98, 0xbf4f1bbd, v98
	v_sub_f32_e32 v23, v93, v23
	v_sub_f32_e32 v4, v42, v90
	v_mov_b32_e32 v93, v7
	v_add_f32_e32 v46, v13, v19
	v_add_f32_e32 v20, v5, v99
	;; [unrolled: 1-line block ×3, first 2 shown]
	v_fmac_f32_e32 v98, 0x3f167918, v22
	v_sub_f32_e32 v22, v13, v19
	v_sub_f32_e32 v18, v5, v99
	;; [unrolled: 1-line block ×3, first 2 shown]
	v_fmac_f32_e32 v93, 0xbf737871, v4
	v_sub_f32_e32 v5, v43, v88
	v_sub_f32_e32 v12, v87, v89
	;; [unrolled: 1-line block ×3, first 2 shown]
	v_fmac_f32_e32 v7, 0x3f737871, v4
	v_fmac_f32_e32 v93, 0xbf167918, v5
	v_add_f32_e32 v12, v12, v13
	v_fmac_f32_e32 v7, 0x3f167918, v5
	v_fmac_f32_e32 v93, 0x3e9e377a, v12
	;; [unrolled: 1-line block ×3, first 2 shown]
	v_add_f32_e32 v12, v87, v92
	v_fma_f32 v0, -0.5, v12, v0
	v_add_f32_e32 v28, v94, v24
	v_sub_f32_e32 v24, v94, v24
	v_mov_b32_e32 v94, v0
	v_fmac_f32_e32 v94, 0x3f737871, v5
	v_fmac_f32_e32 v0, 0xbf737871, v5
	;; [unrolled: 1-line block ×4, first 2 shown]
	v_add_f32_e32 v4, v1, v42
	v_add_f32_e32 v4, v4, v43
	;; [unrolled: 1-line block ×4, first 2 shown]
	v_sub_f32_e32 v19, v95, v98
	v_add_f32_e32 v95, v4, v90
	v_add_f32_e32 v4, v43, v88
	;; [unrolled: 1-line block ×3, first 2 shown]
	v_sub_f32_e32 v25, v96, v100
	v_sub_f32_e32 v12, v89, v87
	;; [unrolled: 1-line block ×3, first 2 shown]
	v_fma_f32 v96, -0.5, v4, v1
	v_add_f32_e32 v12, v12, v13
	v_sub_f32_e32 v4, v87, v92
	v_mov_b32_e32 v87, v96
	v_fmac_f32_e32 v94, 0x3e9e377a, v12
	v_fmac_f32_e32 v0, 0x3e9e377a, v12
	;; [unrolled: 1-line block ×3, first 2 shown]
	v_sub_f32_e32 v5, v89, v91
	v_sub_f32_e32 v12, v42, v43
	;; [unrolled: 1-line block ×3, first 2 shown]
	v_fmac_f32_e32 v96, 0xbf737871, v4
	v_fmac_f32_e32 v87, 0x3f167918, v5
	v_add_f32_e32 v12, v12, v13
	v_fmac_f32_e32 v96, 0xbf167918, v5
	v_fmac_f32_e32 v87, 0x3e9e377a, v12
	v_fmac_f32_e32 v96, 0x3e9e377a, v12
	v_add_f32_e32 v12, v42, v90
	v_fmac_f32_e32 v1, -0.5, v12
	v_mul_f32_e32 v2, v109, v115
	v_mov_b32_e32 v89, v1
	v_fmac_f32_e32 v2, v108, v114
	v_mul_f32_e32 v14, v129, v123
	v_fmac_f32_e32 v89, 0xbf737871, v5
	v_fmac_f32_e32 v1, 0x3f737871, v5
	v_fmac_f32_e32 v14, v128, v122
	v_fmac_f32_e32 v89, 0x3f167918, v4
	v_fmac_f32_e32 v1, 0xbf167918, v4
	v_add_f32_e32 v4, v2, v10
	v_add_f32_e32 v4, v4, v14
	;; [unrolled: 1-line block ×3, first 2 shown]
	v_sub_f32_e32 v13, v88, v90
	v_add_f32_e32 v88, v4, v41
	v_add_f32_e32 v4, v14, v40
	v_mul_f32_e32 v9, v128, v123
	v_sub_f32_e32 v12, v43, v42
	v_fma_f32 v5, -0.5, v4, v2
	v_fma_f32 v9, v129, v122, -v9
	v_add_f32_e32 v12, v12, v13
	v_sub_f32_e32 v4, v8, v15
	v_mov_b32_e32 v13, v5
	v_fmac_f32_e32 v89, 0x3e9e377a, v12
	v_fmac_f32_e32 v1, 0x3e9e377a, v12
	;; [unrolled: 1-line block ×3, first 2 shown]
	v_sub_f32_e32 v12, v9, v11
	v_sub_f32_e32 v42, v10, v14
	;; [unrolled: 1-line block ×3, first 2 shown]
	v_fmac_f32_e32 v5, 0x3f737871, v4
	v_fmac_f32_e32 v13, 0xbf167918, v12
	v_add_f32_e32 v42, v42, v43
	v_fmac_f32_e32 v5, 0x3f167918, v12
	v_fmac_f32_e32 v13, 0x3e9e377a, v42
	;; [unrolled: 1-line block ×3, first 2 shown]
	v_add_f32_e32 v42, v10, v41
	v_fmac_f32_e32 v2, -0.5, v42
	v_mul_f32_e32 v3, v108, v115
	v_mov_b32_e32 v90, v2
	v_fma_f32 v3, v109, v114, -v3
	v_fmac_f32_e32 v90, 0x3f737871, v12
	v_fmac_f32_e32 v2, 0xbf737871, v12
	;; [unrolled: 1-line block ×4, first 2 shown]
	v_add_f32_e32 v4, v3, v8
	v_add_f32_e32 v4, v4, v9
	;; [unrolled: 1-line block ×5, first 2 shown]
	v_fma_f32 v92, -0.5, v4, v3
	v_sub_f32_e32 v42, v14, v10
	v_sub_f32_e32 v4, v10, v41
	v_mov_b32_e32 v10, v92
	v_sub_f32_e32 v43, v40, v41
	v_fmac_f32_e32 v10, 0x3f737871, v4
	v_sub_f32_e32 v12, v14, v40
	v_sub_f32_e32 v14, v8, v9
	;; [unrolled: 1-line block ×3, first 2 shown]
	v_fmac_f32_e32 v92, 0xbf737871, v4
	v_fmac_f32_e32 v10, 0x3f167918, v12
	v_add_f32_e32 v14, v14, v40
	v_fmac_f32_e32 v92, 0xbf167918, v12
	v_fmac_f32_e32 v10, 0x3e9e377a, v14
	;; [unrolled: 1-line block ×3, first 2 shown]
	v_add_f32_e32 v14, v8, v15
	v_fmac_f32_e32 v3, -0.5, v14
	v_mov_b32_e32 v97, v3
	v_fmac_f32_e32 v97, 0xbf737871, v12
	v_sub_f32_e32 v8, v9, v8
	v_sub_f32_e32 v9, v11, v15
	s_barrier
	ds_write2_b64 v85, v[56:57], v[58:59] offset1:30
	ds_write2_b64 v85, v[50:51], v[54:55] offset0:60 offset1:90
	ds_write2_b64 v85, v[48:49], v[52:53] offset0:120 offset1:150
	;; [unrolled: 1-line block ×3, first 2 shown]
	v_add_u32_e32 v36, 0x400, v85
	v_fmac_f32_e32 v97, 0x3f167918, v4
	v_add_f32_e32 v8, v8, v9
	v_fmac_f32_e32 v3, 0x3f737871, v12
	ds_write2_b64 v36, v[32:33], v[34:35] offset0:112 offset1:142
	v_mul_u32_u24_e32 v32, 0x960, v84
	v_lshlrev_b32_sdwa v33, v66, v83 dst_sel:DWORD dst_unused:UNUSED_PAD src0_sel:DWORD src1_sel:BYTE_0
	v_add_f32_e32 v42, v42, v43
	v_fmac_f32_e32 v97, 0x3e9e377a, v8
	v_fmac_f32_e32 v3, 0xbf167918, v4
	v_add3_u32 v32, 0, v32, v33
	v_fmac_f32_e32 v90, 0x3e9e377a, v42
	v_fmac_f32_e32 v3, 0x3e9e377a, v8
	v_mul_f32_e32 v8, 0xbf167918, v10
	v_mul_f32_e32 v9, 0xbf737871, v97
	v_mul_f32_e32 v98, 0xbf167918, v92
	v_mul_f32_e32 v99, 0x3f4f1bbd, v10
	v_mul_f32_e32 v97, 0x3e9e377a, v97
	ds_write2_b64 v32, v[44:45], v[46:47] offset1:30
	ds_write2_b64 v32, v[28:29], v[30:31] offset0:60 offset1:90
	ds_write2_b64 v32, v[20:21], v[26:27] offset0:120 offset1:150
	;; [unrolled: 1-line block ×3, first 2 shown]
	v_add_u32_e32 v20, 0x400, v32
	v_fmac_f32_e32 v2, 0x3e9e377a, v42
	v_fmac_f32_e32 v8, 0x3f4f1bbd, v13
	;; [unrolled: 1-line block ×3, first 2 shown]
	v_mul_f32_e32 v11, 0xbf737871, v3
	v_fmac_f32_e32 v98, 0xbf4f1bbd, v5
	v_fmac_f32_e32 v99, 0x3f167918, v13
	;; [unrolled: 1-line block ×3, first 2 shown]
	v_mul_f32_e32 v3, 0xbe9e377a, v3
	v_mul_f32_e32 v90, 0xbf4f1bbd, v92
	ds_write2_b64 v20, v[16:17], v[18:19] offset0:112 offset1:142
	v_mul_u32_u24_e32 v16, 0x960, v67
	v_lshlrev_b32_e32 v17, 3, v82
	v_add_f32_e32 v40, v6, v88
	v_add_f32_e32 v42, v93, v8
	v_fmac_f32_e32 v11, 0xbe9e377a, v2
	v_add_f32_e32 v4, v7, v98
	v_add_f32_e32 v41, v95, v91
	;; [unrolled: 1-line block ×3, first 2 shown]
	v_fmac_f32_e32 v3, 0x3f737871, v2
	v_fmac_f32_e32 v90, 0x3f167918, v5
	v_add3_u32 v16, 0, v16, v17
	v_add_f32_e32 v12, v94, v9
	v_add_f32_e32 v14, v0, v11
	;; [unrolled: 1-line block ×5, first 2 shown]
	v_sub_f32_e32 v10, v6, v88
	v_sub_f32_e32 v6, v93, v8
	;; [unrolled: 1-line block ×10, first 2 shown]
	ds_write2_b64 v16, v[40:41], v[42:43] offset1:30
	ds_write2_b64 v16, v[12:13], v[14:15] offset0:60 offset1:90
	ds_write2_b64 v16, v[4:5], v[10:11] offset0:120 offset1:150
	;; [unrolled: 1-line block ×3, first 2 shown]
	v_add_u32_e32 v4, 0x400, v16
	ds_write2_b64 v4, v[0:1], v[2:3] offset0:112 offset1:142
	v_mul_u32_u24_e32 v0, 9, v62
	v_lshlrev_b32_e32 v0, 3, v0
	s_waitcnt lgkmcnt(0)
	s_barrier
	global_load_dwordx4 v[9:12], v0, s[12:13] offset:2320
	global_load_dwordx4 v[18:21], v0, s[12:13] offset:2336
	;; [unrolled: 1-line block ×4, first 2 shown]
	v_mov_b32_e32 v1, s13
	v_add_co_u32_e32 v8, vcc, s12, v0
	v_addc_co_u32_e32 v15, vcc, 0, v1, vcc
	v_add_co_u32_e32 v13, vcc, s4, v8
	v_addc_co_u32_e32 v14, vcc, 0, v15, vcc
	global_load_dwordx4 v[30:33], v[13:14], off offset:2320
	global_load_dwordx4 v[34:37], v[13:14], off offset:2336
	;; [unrolled: 1-line block ×3, first 2 shown]
	global_load_dwordx2 v[58:59], v0, s[12:13] offset:2384
	s_movk_i32 s4, 0x3840
	ds_read2_b64 v[4:7], v68 offset1:100
	ds_read2_b64 v[0:3], v77 offset0:72 offset1:172
	ds_read2_b64 v[42:45], v81 offset0:88 offset1:188
	;; [unrolled: 1-line block ×6, first 2 shown]
	global_load_dwordx4 v[90:93], v[13:14], off offset:2368
	v_add_co_u32_e32 v46, vcc, s4, v8
	ds_read2_b64 v[94:97], v63 offset0:80 offset1:180
	ds_read2_b64 v[98:101], v78 offset0:96 offset1:196
	;; [unrolled: 1-line block ×4, first 2 shown]
	global_load_dwordx2 v[66:67], v[13:14], off offset:2384
	v_addc_co_u32_e32 v47, vcc, 0, v15, vcc
	global_load_dwordx4 v[110:113], v[46:47], off offset:2336
	global_load_dwordx4 v[114:117], v[46:47], off offset:2320
	ds_read2_b64 v[118:121], v75 offset0:104 offset1:204
	global_load_dwordx4 v[122:125], v[46:47], off offset:2368
	global_load_dwordx4 v[126:129], v[46:47], off offset:2352
	global_load_dwordx2 v[134:135], v[46:47], off offset:2384
	ds_read2_b64 v[130:133], v70 offset0:112 offset1:212
	s_waitcnt vmcnt(14) lgkmcnt(11)
	v_mul_f32_e32 v8, v10, v3
	v_fmac_f32_e32 v8, v9, v2
	v_mul_f32_e32 v2, v10, v2
	s_waitcnt vmcnt(11) lgkmcnt(4)
	v_mul_f32_e32 v17, v98, v29
	v_fma_f32 v136, v99, v28, -v17
	v_fma_f32 v2, v9, v3, -v2
	v_mul_f32_e32 v3, v12, v42
	v_mul_f32_e32 v9, v54, v21
	;; [unrolled: 1-line block ×3, first 2 shown]
	v_fma_f32 v14, v11, v43, -v3
	s_waitcnt vmcnt(10)
	v_mul_f32_e32 v17, v44, v33
	v_fma_f32 v46, v45, v32, -v17
	s_waitcnt lgkmcnt(2)
	v_mul_f32_e32 v17, v106, v31
	v_mul_f32_e32 v10, v19, v53
	;; [unrolled: 1-line block ×4, first 2 shown]
	v_fma_f32 v15, v55, v20, -v9
	v_mul_f32_e32 v12, v85, v23
	v_mul_f32_e32 v9, v84, v23
	v_fma_f32 v23, v107, v30, -v17
	s_waitcnt vmcnt(9)
	v_mul_f32_e32 v17, v56, v37
	v_fmac_f32_e32 v16, v11, v42
	v_fmac_f32_e32 v19, v54, v20
	v_mul_f32_e32 v20, v87, v25
	v_mul_f32_e32 v11, v86, v25
	v_fma_f32 v47, v57, v36, -v17
	s_waitcnt lgkmcnt(1)
	v_mul_f32_e32 v17, v118, v35
	v_fmac_f32_e32 v10, v18, v52
	v_fma_f32 v3, v18, v53, -v3
	v_fmac_f32_e32 v12, v84, v22
	v_fma_f32 v9, v85, v22, -v9
	;; [unrolled: 2-line block ×3, first 2 shown]
	ds_read2_b64 v[84:87], v73 offset0:64 offset1:164
	v_mul_f32_e32 v54, v57, v37
	v_fma_f32 v24, v119, v34, -v17
	s_waitcnt vmcnt(8)
	v_mul_f32_e32 v17, v88, v41
	v_add_f32_e32 v57, v4, v16
	v_mul_f32_e32 v21, v99, v29
	v_fmac_f32_e32 v54, v56, v36
	v_fma_f32 v49, v89, v40, -v17
	s_waitcnt vmcnt(7)
	v_mul_f32_e32 v56, v105, v59
	v_mul_f32_e32 v17, v104, v59
	s_waitcnt vmcnt(6)
	v_mul_f32_e32 v29, v100, v93
	v_add_f32_e32 v57, v57, v19
	v_fmac_f32_e32 v21, v98, v28
	v_mul_f32_e32 v48, v45, v33
	v_fmac_f32_e32 v56, v104, v58
	v_fma_f32 v17, v105, v58, -v17
	v_fma_f32 v58, v101, v92, -v29
	s_waitcnt vmcnt(5) lgkmcnt(1)
	v_mul_f32_e32 v43, v131, v67
	v_mul_f32_e32 v29, v130, v67
	v_add_f32_e32 v57, v57, v20
	v_fmac_f32_e32 v48, v44, v32
	v_fmac_f32_e32 v43, v130, v66
	v_fma_f32 v29, v131, v66, -v29
	s_waitcnt vmcnt(3)
	v_mul_f32_e32 v44, v51, v117
	v_add_f32_e32 v66, v57, v21
	v_add_f32_e32 v57, v19, v20
	v_fmac_f32_e32 v44, v50, v116
	v_mul_f32_e32 v32, v50, v117
	v_mul_f32_e32 v50, v83, v113
	v_fma_f32 v67, -0.5, v57, v4
	s_waitcnt lgkmcnt(0)
	v_mul_f32_e32 v28, v85, v39
	v_mul_f32_e32 v25, v84, v39
	v_fmac_f32_e32 v50, v82, v112
	v_mul_f32_e32 v33, v82, v113
	v_sub_f32_e32 v57, v14, v136
	v_mov_b32_e32 v82, v67
	v_mul_f32_e32 v55, v89, v41
	v_fmac_f32_e32 v28, v84, v38
	v_fma_f32 v25, v85, v38, -v25
	v_fma_f32 v41, v83, v112, -v33
	v_fmac_f32_e32 v82, 0xbf737871, v57
	v_sub_f32_e32 v83, v15, v18
	v_sub_f32_e32 v84, v16, v19
	;; [unrolled: 1-line block ×3, first 2 shown]
	v_fmac_f32_e32 v67, 0x3f737871, v57
	v_fmac_f32_e32 v82, 0xbf167918, v83
	v_add_f32_e32 v84, v84, v85
	v_fmac_f32_e32 v67, 0x3f167918, v83
	v_fmac_f32_e32 v82, 0x3e9e377a, v84
	;; [unrolled: 1-line block ×3, first 2 shown]
	v_add_f32_e32 v84, v16, v21
	v_fma_f32 v84, -0.5, v84, v4
	v_mov_b32_e32 v4, v84
	v_fmac_f32_e32 v4, 0x3f737871, v83
	v_fmac_f32_e32 v84, 0xbf737871, v83
	;; [unrolled: 1-line block ×4, first 2 shown]
	v_add_f32_e32 v57, v5, v14
	s_waitcnt vmcnt(1)
	v_mul_f32_e32 v36, v87, v127
	v_add_f32_e32 v57, v57, v15
	v_fmac_f32_e32 v36, v86, v126
	v_mul_f32_e32 v33, v86, v127
	v_sub_f32_e32 v85, v19, v16
	v_sub_f32_e32 v86, v20, v21
	v_add_f32_e32 v57, v57, v18
	v_add_f32_e32 v85, v85, v86
	;; [unrolled: 1-line block ×4, first 2 shown]
	v_fmac_f32_e32 v4, 0x3e9e377a, v85
	v_fmac_f32_e32 v84, 0x3e9e377a, v85
	v_fma_f32 v85, -0.5, v57, v5
	v_sub_f32_e32 v16, v16, v21
	v_mov_b32_e32 v86, v85
	v_fmac_f32_e32 v86, 0x3f737871, v16
	v_sub_f32_e32 v19, v19, v20
	v_sub_f32_e32 v20, v14, v15
	;; [unrolled: 1-line block ×3, first 2 shown]
	v_fmac_f32_e32 v85, 0xbf737871, v16
	v_fmac_f32_e32 v86, 0x3f167918, v19
	v_add_f32_e32 v20, v20, v21
	v_fmac_f32_e32 v85, 0xbf167918, v19
	v_mul_f32_e32 v13, v97, v27
	v_fmac_f32_e32 v86, 0x3e9e377a, v20
	v_fmac_f32_e32 v85, 0x3e9e377a, v20
	v_add_f32_e32 v20, v14, v136
	v_fmac_f32_e32 v13, v96, v26
	v_fma_f32 v33, v87, v126, -v33
	v_fma_f32 v87, -0.5, v20, v5
	v_sub_f32_e32 v14, v15, v14
	v_sub_f32_e32 v15, v18, v136
	v_mov_b32_e32 v5, v87
	v_add_f32_e32 v14, v14, v15
	v_add_f32_e32 v15, v12, v13
	v_mul_f32_e32 v11, v96, v27
	v_fmac_f32_e32 v5, 0xbf737871, v19
	v_fmac_f32_e32 v87, 0x3f737871, v19
	v_fma_f32 v15, -0.5, v15, v8
	v_fma_f32 v11, v97, v26, -v11
	v_fmac_f32_e32 v5, 0x3f167918, v16
	v_fmac_f32_e32 v87, 0xbf167918, v16
	v_sub_f32_e32 v16, v3, v17
	v_mov_b32_e32 v18, v15
	v_fmac_f32_e32 v18, 0xbf737871, v16
	v_sub_f32_e32 v19, v9, v11
	v_sub_f32_e32 v20, v10, v12
	;; [unrolled: 1-line block ×3, first 2 shown]
	v_fmac_f32_e32 v15, 0x3f737871, v16
	v_fmac_f32_e32 v18, 0xbf167918, v19
	v_add_f32_e32 v20, v20, v21
	v_fmac_f32_e32 v15, 0x3f167918, v19
	v_fmac_f32_e32 v18, 0x3e9e377a, v20
	;; [unrolled: 1-line block ×3, first 2 shown]
	v_add_f32_e32 v20, v10, v56
	v_fmac_f32_e32 v5, 0x3e9e377a, v14
	v_fmac_f32_e32 v87, 0x3e9e377a, v14
	v_add_f32_e32 v14, v8, v10
	v_fmac_f32_e32 v8, -0.5, v20
	v_mov_b32_e32 v21, v8
	v_fmac_f32_e32 v21, 0x3f737871, v19
	v_fmac_f32_e32 v8, 0xbf737871, v19
	;; [unrolled: 1-line block ×4, first 2 shown]
	v_add_f32_e32 v16, v2, v3
	v_add_f32_e32 v16, v16, v9
	;; [unrolled: 1-line block ×5, first 2 shown]
	ds_read2_b64 v[96:99], v72 offset0:152 offset1:252
	v_fmac_f32_e32 v55, v88, v40
	v_fma_f32 v88, -0.5, v16, v2
	v_add_f32_e32 v14, v14, v12
	v_sub_f32_e32 v20, v12, v10
	v_sub_f32_e32 v10, v10, v56
	v_mov_b32_e32 v89, v88
	v_add_f32_e32 v14, v14, v13
	v_sub_f32_e32 v57, v13, v56
	v_fmac_f32_e32 v89, 0x3f737871, v10
	v_sub_f32_e32 v12, v12, v13
	v_sub_f32_e32 v13, v3, v9
	;; [unrolled: 1-line block ×3, first 2 shown]
	v_fmac_f32_e32 v88, 0xbf737871, v10
	v_fmac_f32_e32 v89, 0x3f167918, v12
	v_add_f32_e32 v13, v13, v16
	v_fmac_f32_e32 v88, 0xbf167918, v12
	v_fmac_f32_e32 v89, 0x3e9e377a, v13
	;; [unrolled: 1-line block ×3, first 2 shown]
	v_add_f32_e32 v13, v3, v17
	s_waitcnt lgkmcnt(0)
	v_mul_f32_e32 v42, v97, v91
	v_mul_f32_e32 v27, v96, v91
	v_fmac_f32_e32 v2, -0.5, v13
	v_fmac_f32_e32 v42, v96, v90
	v_fma_f32 v27, v97, v90, -v27
	v_mov_b32_e32 v90, v2
	v_mul_f32_e32 v59, v101, v93
	v_fmac_f32_e32 v90, 0xbf737871, v12
	v_sub_f32_e32 v3, v9, v3
	v_sub_f32_e32 v9, v11, v17
	v_fmac_f32_e32 v2, 0x3f737871, v12
	v_fmac_f32_e32 v59, v100, v92
	;; [unrolled: 1-line block ×3, first 2 shown]
	v_add_f32_e32 v3, v3, v9
	v_fmac_f32_e32 v2, 0xbf167918, v10
	v_mul_f32_e32 v92, 0xbf167918, v88
	v_add_f32_e32 v20, v20, v57
	v_fmac_f32_e32 v90, 0x3e9e377a, v3
	v_fmac_f32_e32 v2, 0x3e9e377a, v3
	;; [unrolled: 1-line block ×4, first 2 shown]
	v_mul_f32_e32 v3, 0xbf167918, v89
	v_mul_f32_e32 v9, 0xbf737871, v90
	;; [unrolled: 1-line block ×3, first 2 shown]
	v_add_f32_e32 v16, v67, v92
	v_mul_f32_e32 v93, 0xbe9e377a, v2
	v_sub_f32_e32 v2, v67, v92
	v_add_f32_e32 v67, v54, v55
	v_fmac_f32_e32 v8, 0x3e9e377a, v20
	v_fmac_f32_e32 v3, 0x3f4f1bbd, v18
	v_fmac_f32_e32 v9, 0x3e9e377a, v21
	v_mul_f32_e32 v89, 0x3f4f1bbd, v89
	v_mul_f32_e32 v88, 0xbf4f1bbd, v88
	v_fma_f32 v67, -0.5, v67, v6
	v_add_f32_e32 v14, v14, v56
	v_add_f32_e32 v12, v82, v3
	;; [unrolled: 1-line block ×3, first 2 shown]
	v_fmac_f32_e32 v91, 0xbe9e377a, v8
	v_add_f32_e32 v57, v83, v19
	v_fmac_f32_e32 v89, 0x3f167918, v18
	v_fmac_f32_e32 v88, 0x3f167918, v15
	v_sub_f32_e32 v18, v82, v3
	v_sub_f32_e32 v4, v4, v9
	;; [unrolled: 1-line block ×4, first 2 shown]
	v_mov_b32_e32 v83, v67
	v_add_f32_e32 v56, v66, v14
	v_add_f32_e32 v10, v84, v91
	;; [unrolled: 1-line block ×3, first 2 shown]
	v_fmac_f32_e32 v93, 0x3f737871, v8
	v_add_f32_e32 v17, v85, v88
	v_sub_f32_e32 v8, v66, v14
	v_sub_f32_e32 v14, v84, v91
	;; [unrolled: 1-line block ×4, first 2 shown]
	v_fmac_f32_e32 v83, 0xbf737871, v82
	v_sub_f32_e32 v84, v47, v49
	v_sub_f32_e32 v85, v48, v54
	;; [unrolled: 1-line block ×3, first 2 shown]
	v_fmac_f32_e32 v67, 0x3f737871, v82
	v_fmac_f32_e32 v83, 0xbf167918, v84
	v_add_f32_e32 v85, v85, v86
	v_fmac_f32_e32 v67, 0x3f167918, v84
	v_fmac_f32_e32 v83, 0x3e9e377a, v85
	;; [unrolled: 1-line block ×3, first 2 shown]
	v_add_f32_e32 v85, v48, v59
	v_add_f32_e32 v66, v6, v48
	v_fma_f32 v6, -0.5, v85, v6
	v_mov_b32_e32 v85, v6
	v_add_f32_e32 v11, v87, v93
	v_sub_f32_e32 v15, v87, v93
	v_fmac_f32_e32 v85, 0x3f737871, v84
	v_sub_f32_e32 v86, v54, v48
	v_sub_f32_e32 v87, v55, v59
	v_fmac_f32_e32 v6, 0xbf737871, v84
	v_add_f32_e32 v84, v47, v49
	v_add_f32_e32 v66, v66, v54
	v_fmac_f32_e32 v85, 0xbf167918, v82
	v_add_f32_e32 v86, v86, v87
	v_fmac_f32_e32 v6, 0x3f167918, v82
	v_fma_f32 v84, -0.5, v84, v7
	v_add_f32_e32 v66, v66, v55
	v_fmac_f32_e32 v85, 0x3e9e377a, v86
	v_fmac_f32_e32 v6, 0x3e9e377a, v86
	v_sub_f32_e32 v48, v48, v59
	v_mov_b32_e32 v86, v84
	v_add_f32_e32 v66, v66, v59
	v_fmac_f32_e32 v86, 0x3f737871, v48
	v_sub_f32_e32 v54, v54, v55
	v_sub_f32_e32 v55, v46, v47
	;; [unrolled: 1-line block ×3, first 2 shown]
	v_fmac_f32_e32 v84, 0xbf737871, v48
	v_fmac_f32_e32 v86, 0x3f167918, v54
	v_add_f32_e32 v55, v55, v59
	v_fmac_f32_e32 v84, 0xbf167918, v54
	v_fmac_f32_e32 v86, 0x3e9e377a, v55
	;; [unrolled: 1-line block ×3, first 2 shown]
	v_add_f32_e32 v55, v46, v58
	v_add_f32_e32 v82, v7, v46
	v_fmac_f32_e32 v7, -0.5, v55
	v_mov_b32_e32 v87, v7
	v_mul_f32_e32 v22, v107, v31
	v_mul_f32_e32 v26, v119, v35
	v_add_f32_e32 v82, v82, v47
	v_fmac_f32_e32 v87, 0xbf737871, v54
	v_sub_f32_e32 v46, v47, v46
	v_sub_f32_e32 v47, v49, v58
	v_fmac_f32_e32 v7, 0x3f737871, v54
	v_fmac_f32_e32 v22, v106, v30
	;; [unrolled: 1-line block ×4, first 2 shown]
	v_add_f32_e32 v46, v46, v47
	v_fmac_f32_e32 v7, 0xbf167918, v48
	v_fmac_f32_e32 v87, 0x3e9e377a, v46
	;; [unrolled: 1-line block ×3, first 2 shown]
	v_add_f32_e32 v46, v22, v26
	v_add_f32_e32 v46, v46, v28
	;; [unrolled: 1-line block ×5, first 2 shown]
	v_fma_f32 v47, -0.5, v46, v22
	v_add_f32_e32 v82, v82, v49
	v_sub_f32_e32 v46, v24, v29
	v_mov_b32_e32 v49, v47
	v_add_f32_e32 v82, v82, v58
	v_fmac_f32_e32 v49, 0xbf737871, v46
	v_sub_f32_e32 v54, v25, v27
	v_sub_f32_e32 v55, v26, v28
	;; [unrolled: 1-line block ×3, first 2 shown]
	v_fmac_f32_e32 v47, 0x3f737871, v46
	v_fmac_f32_e32 v49, 0xbf167918, v54
	v_add_f32_e32 v55, v55, v58
	v_fmac_f32_e32 v47, 0x3f167918, v54
	v_fmac_f32_e32 v49, 0x3e9e377a, v55
	;; [unrolled: 1-line block ×3, first 2 shown]
	v_add_f32_e32 v55, v26, v43
	v_fmac_f32_e32 v22, -0.5, v55
	v_mov_b32_e32 v55, v22
	v_fmac_f32_e32 v55, 0x3f737871, v54
	v_fmac_f32_e32 v22, 0xbf737871, v54
	v_fmac_f32_e32 v55, 0xbf167918, v46
	v_fmac_f32_e32 v22, 0x3f167918, v46
	v_add_f32_e32 v46, v23, v24
	v_add_f32_e32 v46, v46, v25
	;; [unrolled: 1-line block ×5, first 2 shown]
	v_fma_f32 v89, -0.5, v46, v23
	v_sub_f32_e32 v58, v28, v26
	v_sub_f32_e32 v59, v42, v43
	;; [unrolled: 1-line block ×3, first 2 shown]
	v_mov_b32_e32 v43, v89
	v_fmac_f32_e32 v43, 0x3f737871, v26
	v_sub_f32_e32 v28, v28, v42
	v_sub_f32_e32 v42, v24, v25
	;; [unrolled: 1-line block ×3, first 2 shown]
	v_fmac_f32_e32 v89, 0xbf737871, v26
	v_fmac_f32_e32 v43, 0x3f167918, v28
	v_add_f32_e32 v42, v42, v46
	v_fmac_f32_e32 v89, 0xbf167918, v28
	v_fmac_f32_e32 v43, 0x3e9e377a, v42
	;; [unrolled: 1-line block ×3, first 2 shown]
	v_add_f32_e32 v42, v24, v29
	v_fmac_f32_e32 v23, -0.5, v42
	v_mov_b32_e32 v42, v23
	v_sub_f32_e32 v24, v25, v24
	v_sub_f32_e32 v25, v27, v29
	v_fmac_f32_e32 v23, 0x3f737871, v28
	v_add_f32_e32 v24, v24, v25
	v_fmac_f32_e32 v23, 0xbf167918, v26
	v_add_f32_e32 v58, v58, v59
	v_fmac_f32_e32 v42, 0xbf737871, v28
	v_fmac_f32_e32 v23, 0x3e9e377a, v24
	v_mul_f32_e32 v52, v95, v129
	v_mul_f32_e32 v90, 0x3e9e377a, v90
	v_fmac_f32_e32 v22, 0x3e9e377a, v58
	v_fmac_f32_e32 v42, 0x3f167918, v26
	v_mul_f32_e32 v91, 0xbf737871, v23
	v_mul_f32_e32 v92, 0xbf167918, v89
	v_fmac_f32_e32 v52, v94, v128
	v_fmac_f32_e32 v90, 0x3f737871, v21
	;; [unrolled: 1-line block ×5, first 2 shown]
	v_mul_f32_e32 v38, v102, v125
	v_add_f32_e32 v21, v5, v90
	v_sub_f32_e32 v5, v5, v90
	v_mul_f32_e32 v25, 0xbf167918, v43
	v_mul_f32_e32 v90, 0xbf737871, v42
	v_add_f32_e32 v26, v6, v91
	v_add_f32_e32 v46, v67, v92
	v_mul_f32_e32 v93, 0x3e9e377a, v42
	v_sub_f32_e32 v42, v6, v91
	v_sub_f32_e32 v6, v67, v92
	v_add_f32_e32 v67, v50, v52
	v_fma_f32 v40, v51, v116, -v32
	v_mul_f32_e32 v35, v94, v129
	v_mul_f32_e32 v53, v103, v125
	v_fma_f32 v51, v103, v124, -v38
	v_fmac_f32_e32 v55, 0x3e9e377a, v58
	v_fmac_f32_e32 v25, 0x3f4f1bbd, v49
	v_mul_f32_e32 v43, 0x3f4f1bbd, v43
	v_mul_f32_e32 v94, 0xbe9e377a, v23
	v_mul_f32_e32 v89, 0xbf4f1bbd, v89
	v_fma_f32 v67, -0.5, v67, v0
	v_fma_f32 v45, v95, v128, -v35
	v_fmac_f32_e32 v53, v102, v124
	v_add_f32_e32 v58, v66, v48
	v_add_f32_e32 v28, v83, v25
	v_fmac_f32_e32 v90, 0x3e9e377a, v55
	v_add_f32_e32 v59, v82, v88
	v_fmac_f32_e32 v43, 0x3f167918, v49
	v_fmac_f32_e32 v94, 0x3f737871, v22
	;; [unrolled: 1-line block ×3, first 2 shown]
	v_sub_f32_e32 v24, v66, v48
	v_sub_f32_e32 v48, v83, v25
	;; [unrolled: 1-line block ×4, first 2 shown]
	v_mov_b32_e32 v83, v67
	v_add_f32_e32 v54, v85, v90
	v_add_f32_e32 v29, v86, v43
	;; [unrolled: 1-line block ×4, first 2 shown]
	v_sub_f32_e32 v22, v85, v90
	v_sub_f32_e32 v49, v86, v43
	v_sub_f32_e32 v43, v7, v94
	v_sub_f32_e32 v7, v84, v89
	v_fmac_f32_e32 v83, 0xbf737871, v82
	v_sub_f32_e32 v84, v41, v45
	v_sub_f32_e32 v85, v44, v50
	;; [unrolled: 1-line block ×3, first 2 shown]
	v_fmac_f32_e32 v67, 0x3f737871, v82
	v_fmac_f32_e32 v83, 0xbf167918, v84
	v_add_f32_e32 v85, v85, v86
	v_fmac_f32_e32 v67, 0x3f167918, v84
	v_fmac_f32_e32 v83, 0x3e9e377a, v85
	;; [unrolled: 1-line block ×3, first 2 shown]
	v_add_f32_e32 v85, v44, v53
	v_add_f32_e32 v66, v0, v44
	v_fma_f32 v0, -0.5, v85, v0
	v_fmac_f32_e32 v93, 0x3f737871, v55
	v_mov_b32_e32 v85, v0
	v_add_f32_e32 v55, v87, v93
	v_sub_f32_e32 v23, v87, v93
	v_fmac_f32_e32 v85, 0x3f737871, v84
	v_sub_f32_e32 v86, v50, v44
	v_sub_f32_e32 v87, v52, v53
	v_fmac_f32_e32 v0, 0xbf737871, v84
	v_add_f32_e32 v84, v41, v45
	v_add_f32_e32 v66, v66, v50
	v_fmac_f32_e32 v85, 0xbf167918, v82
	v_add_f32_e32 v86, v86, v87
	v_fmac_f32_e32 v0, 0x3f167918, v82
	v_fma_f32 v84, -0.5, v84, v1
	v_add_f32_e32 v66, v66, v52
	v_fmac_f32_e32 v85, 0x3e9e377a, v86
	v_fmac_f32_e32 v0, 0x3e9e377a, v86
	v_sub_f32_e32 v44, v44, v53
	v_mov_b32_e32 v86, v84
	v_add_f32_e32 v66, v66, v53
	v_fmac_f32_e32 v86, 0x3f737871, v44
	v_sub_f32_e32 v50, v50, v52
	v_sub_f32_e32 v52, v40, v41
	v_sub_f32_e32 v53, v51, v45
	v_fmac_f32_e32 v84, 0xbf737871, v44
	v_fmac_f32_e32 v86, 0x3f167918, v50
	v_add_f32_e32 v52, v52, v53
	v_fmac_f32_e32 v84, 0xbf167918, v50
	v_fmac_f32_e32 v86, 0x3e9e377a, v52
	v_fmac_f32_e32 v84, 0x3e9e377a, v52
	v_add_f32_e32 v52, v40, v51
	v_add_f32_e32 v82, v1, v40
	v_fmac_f32_e32 v1, -0.5, v52
	v_mov_b32_e32 v87, v1
	v_mul_f32_e32 v30, v109, v115
	v_mul_f32_e32 v34, v121, v111
	v_add_f32_e32 v82, v82, v41
	v_fmac_f32_e32 v87, 0xbf737871, v50
	v_sub_f32_e32 v40, v41, v40
	v_sub_f32_e32 v41, v45, v51
	v_fmac_f32_e32 v1, 0x3f737871, v50
	v_fmac_f32_e32 v30, v108, v114
	;; [unrolled: 1-line block ×4, first 2 shown]
	v_add_f32_e32 v40, v40, v41
	v_fmac_f32_e32 v1, 0xbf167918, v44
	v_mul_f32_e32 v37, v99, v123
	v_fmac_f32_e32 v87, 0x3e9e377a, v40
	v_fmac_f32_e32 v1, 0x3e9e377a, v40
	v_add_f32_e32 v40, v30, v34
	v_fmac_f32_e32 v37, v98, v122
	s_waitcnt vmcnt(0)
	v_mul_f32_e32 v39, v133, v135
	v_add_f32_e32 v40, v40, v36
	v_fmac_f32_e32 v39, v132, v134
	v_add_f32_e32 v40, v40, v37
	v_mul_f32_e32 v32, v120, v111
	v_mul_f32_e32 v38, v132, v135
	v_add_f32_e32 v88, v40, v39
	v_add_f32_e32 v40, v36, v37
	v_fma_f32 v32, v121, v110, -v32
	v_mul_f32_e32 v35, v98, v123
	v_fma_f32 v38, v133, v134, -v38
	v_fma_f32 v89, -0.5, v40, v30
	v_fma_f32 v35, v99, v122, -v35
	v_sub_f32_e32 v40, v32, v38
	v_mov_b32_e32 v41, v89
	v_add_f32_e32 v82, v82, v45
	v_fmac_f32_e32 v41, 0xbf737871, v40
	v_sub_f32_e32 v44, v33, v35
	v_sub_f32_e32 v45, v34, v36
	;; [unrolled: 1-line block ×3, first 2 shown]
	v_fmac_f32_e32 v89, 0x3f737871, v40
	v_fmac_f32_e32 v41, 0xbf167918, v44
	v_add_f32_e32 v45, v45, v50
	v_fmac_f32_e32 v89, 0x3f167918, v44
	v_fmac_f32_e32 v41, 0x3e9e377a, v45
	;; [unrolled: 1-line block ×3, first 2 shown]
	v_add_f32_e32 v45, v34, v39
	v_fmac_f32_e32 v30, -0.5, v45
	v_mul_f32_e32 v31, v108, v115
	v_mov_b32_e32 v45, v30
	v_fma_f32 v31, v109, v114, -v31
	v_fmac_f32_e32 v45, 0x3f737871, v44
	v_fmac_f32_e32 v30, 0xbf737871, v44
	;; [unrolled: 1-line block ×4, first 2 shown]
	v_add_f32_e32 v40, v31, v32
	v_add_f32_e32 v40, v40, v33
	;; [unrolled: 1-line block ×5, first 2 shown]
	v_fma_f32 v91, -0.5, v40, v31
	v_add_f32_e32 v82, v82, v51
	v_sub_f32_e32 v50, v36, v34
	v_sub_f32_e32 v51, v37, v39
	;; [unrolled: 1-line block ×3, first 2 shown]
	v_mov_b32_e32 v39, v91
	v_fmac_f32_e32 v39, 0x3f737871, v34
	v_sub_f32_e32 v36, v36, v37
	v_sub_f32_e32 v37, v32, v33
	;; [unrolled: 1-line block ×3, first 2 shown]
	v_fmac_f32_e32 v91, 0xbf737871, v34
	v_fmac_f32_e32 v39, 0x3f167918, v36
	v_add_f32_e32 v37, v37, v40
	v_fmac_f32_e32 v91, 0xbf167918, v36
	v_fmac_f32_e32 v39, 0x3e9e377a, v37
	;; [unrolled: 1-line block ×3, first 2 shown]
	v_add_f32_e32 v37, v32, v38
	v_fmac_f32_e32 v31, -0.5, v37
	v_mov_b32_e32 v37, v31
	v_fmac_f32_e32 v37, 0xbf737871, v36
	v_sub_f32_e32 v32, v33, v32
	v_sub_f32_e32 v33, v35, v38
	v_fmac_f32_e32 v31, 0x3f737871, v36
	v_fmac_f32_e32 v37, 0x3f167918, v34
	v_add_f32_e32 v32, v32, v33
	v_fmac_f32_e32 v31, 0xbf167918, v34
	v_add_f32_e32 v50, v50, v51
	v_fmac_f32_e32 v37, 0x3e9e377a, v32
	v_fmac_f32_e32 v31, 0x3e9e377a, v32
	;; [unrolled: 1-line block ×4, first 2 shown]
	v_mul_f32_e32 v32, 0xbf167918, v39
	v_mul_f32_e32 v33, 0xbf737871, v37
	v_mul_f32_e32 v35, 0xbf737871, v31
	v_mul_f32_e32 v92, 0xbf167918, v91
	v_mul_f32_e32 v93, 0x3f4f1bbd, v39
	v_mul_f32_e32 v94, 0x3e9e377a, v37
	v_mul_f32_e32 v31, 0xbe9e377a, v31
	v_mul_f32_e32 v91, 0xbf4f1bbd, v91
	v_fmac_f32_e32 v32, 0x3f4f1bbd, v41
	v_fmac_f32_e32 v33, 0x3e9e377a, v45
	v_fmac_f32_e32 v35, 0xbe9e377a, v30
	v_fmac_f32_e32 v92, 0xbf4f1bbd, v89
	v_fmac_f32_e32 v93, 0x3f167918, v41
	v_fmac_f32_e32 v94, 0x3f737871, v45
	v_fmac_f32_e32 v31, 0x3f737871, v30
	v_fmac_f32_e32 v91, 0x3f167918, v89
	v_add_f32_e32 v52, v66, v88
	v_add_f32_e32 v50, v83, v32
	;; [unrolled: 1-line block ×10, first 2 shown]
	v_sub_f32_e32 v36, v66, v88
	v_sub_f32_e32 v34, v83, v32
	;; [unrolled: 1-line block ×10, first 2 shown]
	s_barrier
	ds_write2_b64 v68, v[56:57], v[58:59] offset1:100
	ds_write2_b64 v81, v[20:21], v[54:55] offset0:88 offset1:188
	ds_write2_b64 v80, v[16:17], v[46:47] offset0:48 offset1:148
	;; [unrolled: 1-line block ×14, first 2 shown]
	s_waitcnt lgkmcnt(0)
	s_barrier
	s_and_saveexec_b64 s[4:5], s[0:1]
	s_cbranch_execz .LBB0_21
; %bb.20:
	v_mul_lo_u32 v0, s3, v64
	v_mul_lo_u32 v1, s2, v65
	v_mad_u64_u32 v[4:5], s[0:1], s2, v64, 0
	v_mov_b32_e32 v7, s11
	v_lshl_add_u32 v6, v62, 3, 0
	v_add3_u32 v5, v5, v1, v0
	v_lshlrev_b64 v[4:5], 3, v[4:5]
	v_mov_b32_e32 v63, 0
	v_add_co_u32_e32 v8, vcc, s10, v4
	v_addc_co_u32_e32 v7, vcc, v7, v5, vcc
	v_lshlrev_b64 v[4:5], 3, v[60:61]
	ds_read2_b64 v[0:3], v6 offset1:100
	v_add_co_u32_e32 v8, vcc, v8, v4
	v_addc_co_u32_e32 v7, vcc, v7, v5, vcc
	v_lshlrev_b64 v[4:5], 3, v[62:63]
	v_add_co_u32_e32 v4, vcc, v8, v4
	v_addc_co_u32_e32 v5, vcc, v7, v5, vcc
	s_waitcnt lgkmcnt(0)
	global_store_dwordx2 v[4:5], v[0:1], off
	v_add_u32_e32 v0, 0x64, v62
	v_mov_b32_e32 v1, v63
	v_lshlrev_b64 v[0:1], 3, v[0:1]
	v_add_u32_e32 v4, 0xc8, v62
	v_add_co_u32_e32 v0, vcc, v8, v0
	v_addc_co_u32_e32 v1, vcc, v7, v1, vcc
	global_store_dwordx2 v[0:1], v[2:3], off
	v_add_u32_e32 v0, 0x400, v6
	v_mov_b32_e32 v5, v63
	ds_read2_b64 v[0:3], v0 offset0:72 offset1:172
	v_lshlrev_b64 v[4:5], 3, v[4:5]
	v_add_co_u32_e32 v4, vcc, v8, v4
	v_addc_co_u32_e32 v5, vcc, v7, v5, vcc
	s_waitcnt lgkmcnt(0)
	global_store_dwordx2 v[4:5], v[0:1], off
	v_add_u32_e32 v0, 0x12c, v62
	v_mov_b32_e32 v1, v63
	v_lshlrev_b64 v[0:1], 3, v[0:1]
	v_add_u32_e32 v4, 0x190, v62
	v_add_co_u32_e32 v0, vcc, v8, v0
	v_addc_co_u32_e32 v1, vcc, v7, v1, vcc
	global_store_dwordx2 v[0:1], v[2:3], off
	v_add_u32_e32 v0, 0x800, v6
	v_mov_b32_e32 v5, v63
	ds_read2_b64 v[0:3], v0 offset0:144 offset1:244
	;; [unrolled: 15-line block ×14, first 2 shown]
	v_lshlrev_b64 v[4:5], 3, v[4:5]
	v_add_u32_e32 v62, 0xb54, v62
	v_add_co_u32_e32 v4, vcc, v8, v4
	v_addc_co_u32_e32 v5, vcc, v7, v5, vcc
	s_waitcnt lgkmcnt(0)
	global_store_dwordx2 v[4:5], v[0:1], off
	v_lshlrev_b64 v[0:1], 3, v[62:63]
	v_add_co_u32_e32 v0, vcc, v8, v0
	v_addc_co_u32_e32 v1, vcc, v7, v1, vcc
	global_store_dwordx2 v[0:1], v[2:3], off
.LBB0_21:
	s_endpgm
	.section	.rodata,"a",@progbits
	.p2align	6, 0x0
	.amdhsa_kernel fft_rtc_back_len3000_factors_10_3_10_10_wgs_100_tpt_100_halfLds_sp_op_CI_CI_unitstride_sbrr_C2R_dirReg
		.amdhsa_group_segment_fixed_size 0
		.amdhsa_private_segment_fixed_size 0
		.amdhsa_kernarg_size 104
		.amdhsa_user_sgpr_count 6
		.amdhsa_user_sgpr_private_segment_buffer 1
		.amdhsa_user_sgpr_dispatch_ptr 0
		.amdhsa_user_sgpr_queue_ptr 0
		.amdhsa_user_sgpr_kernarg_segment_ptr 1
		.amdhsa_user_sgpr_dispatch_id 0
		.amdhsa_user_sgpr_flat_scratch_init 0
		.amdhsa_user_sgpr_private_segment_size 0
		.amdhsa_uses_dynamic_stack 0
		.amdhsa_system_sgpr_private_segment_wavefront_offset 0
		.amdhsa_system_sgpr_workgroup_id_x 1
		.amdhsa_system_sgpr_workgroup_id_y 0
		.amdhsa_system_sgpr_workgroup_id_z 0
		.amdhsa_system_sgpr_workgroup_info 0
		.amdhsa_system_vgpr_workitem_id 0
		.amdhsa_next_free_vgpr 142
		.amdhsa_next_free_sgpr 28
		.amdhsa_reserve_vcc 1
		.amdhsa_reserve_flat_scratch 0
		.amdhsa_float_round_mode_32 0
		.amdhsa_float_round_mode_16_64 0
		.amdhsa_float_denorm_mode_32 3
		.amdhsa_float_denorm_mode_16_64 3
		.amdhsa_dx10_clamp 1
		.amdhsa_ieee_mode 1
		.amdhsa_fp16_overflow 0
		.amdhsa_exception_fp_ieee_invalid_op 0
		.amdhsa_exception_fp_denorm_src 0
		.amdhsa_exception_fp_ieee_div_zero 0
		.amdhsa_exception_fp_ieee_overflow 0
		.amdhsa_exception_fp_ieee_underflow 0
		.amdhsa_exception_fp_ieee_inexact 0
		.amdhsa_exception_int_div_zero 0
	.end_amdhsa_kernel
	.text
.Lfunc_end0:
	.size	fft_rtc_back_len3000_factors_10_3_10_10_wgs_100_tpt_100_halfLds_sp_op_CI_CI_unitstride_sbrr_C2R_dirReg, .Lfunc_end0-fft_rtc_back_len3000_factors_10_3_10_10_wgs_100_tpt_100_halfLds_sp_op_CI_CI_unitstride_sbrr_C2R_dirReg
                                        ; -- End function
	.section	.AMDGPU.csdata,"",@progbits
; Kernel info:
; codeLenInByte = 18460
; NumSgprs: 32
; NumVgprs: 142
; ScratchSize: 0
; MemoryBound: 0
; FloatMode: 240
; IeeeMode: 1
; LDSByteSize: 0 bytes/workgroup (compile time only)
; SGPRBlocks: 3
; VGPRBlocks: 35
; NumSGPRsForWavesPerEU: 32
; NumVGPRsForWavesPerEU: 142
; Occupancy: 1
; WaveLimiterHint : 1
; COMPUTE_PGM_RSRC2:SCRATCH_EN: 0
; COMPUTE_PGM_RSRC2:USER_SGPR: 6
; COMPUTE_PGM_RSRC2:TRAP_HANDLER: 0
; COMPUTE_PGM_RSRC2:TGID_X_EN: 1
; COMPUTE_PGM_RSRC2:TGID_Y_EN: 0
; COMPUTE_PGM_RSRC2:TGID_Z_EN: 0
; COMPUTE_PGM_RSRC2:TIDIG_COMP_CNT: 0
	.type	__hip_cuid_9f64ce78df6e90a3,@object ; @__hip_cuid_9f64ce78df6e90a3
	.section	.bss,"aw",@nobits
	.globl	__hip_cuid_9f64ce78df6e90a3
__hip_cuid_9f64ce78df6e90a3:
	.byte	0                               ; 0x0
	.size	__hip_cuid_9f64ce78df6e90a3, 1

	.ident	"AMD clang version 19.0.0git (https://github.com/RadeonOpenCompute/llvm-project roc-6.4.0 25133 c7fe45cf4b819c5991fe208aaa96edf142730f1d)"
	.section	".note.GNU-stack","",@progbits
	.addrsig
	.addrsig_sym __hip_cuid_9f64ce78df6e90a3
	.amdgpu_metadata
---
amdhsa.kernels:
  - .args:
      - .actual_access:  read_only
        .address_space:  global
        .offset:         0
        .size:           8
        .value_kind:     global_buffer
      - .offset:         8
        .size:           8
        .value_kind:     by_value
      - .actual_access:  read_only
        .address_space:  global
        .offset:         16
        .size:           8
        .value_kind:     global_buffer
      - .actual_access:  read_only
        .address_space:  global
        .offset:         24
        .size:           8
        .value_kind:     global_buffer
      - .actual_access:  read_only
        .address_space:  global
        .offset:         32
        .size:           8
        .value_kind:     global_buffer
      - .offset:         40
        .size:           8
        .value_kind:     by_value
      - .actual_access:  read_only
        .address_space:  global
        .offset:         48
        .size:           8
        .value_kind:     global_buffer
      - .actual_access:  read_only
        .address_space:  global
        .offset:         56
        .size:           8
        .value_kind:     global_buffer
      - .offset:         64
        .size:           4
        .value_kind:     by_value
      - .actual_access:  read_only
        .address_space:  global
        .offset:         72
        .size:           8
        .value_kind:     global_buffer
      - .actual_access:  read_only
        .address_space:  global
        .offset:         80
        .size:           8
        .value_kind:     global_buffer
      - .actual_access:  read_only
        .address_space:  global
        .offset:         88
        .size:           8
        .value_kind:     global_buffer
      - .actual_access:  write_only
        .address_space:  global
        .offset:         96
        .size:           8
        .value_kind:     global_buffer
    .group_segment_fixed_size: 0
    .kernarg_segment_align: 8
    .kernarg_segment_size: 104
    .language:       OpenCL C
    .language_version:
      - 2
      - 0
    .max_flat_workgroup_size: 100
    .name:           fft_rtc_back_len3000_factors_10_3_10_10_wgs_100_tpt_100_halfLds_sp_op_CI_CI_unitstride_sbrr_C2R_dirReg
    .private_segment_fixed_size: 0
    .sgpr_count:     32
    .sgpr_spill_count: 0
    .symbol:         fft_rtc_back_len3000_factors_10_3_10_10_wgs_100_tpt_100_halfLds_sp_op_CI_CI_unitstride_sbrr_C2R_dirReg.kd
    .uniform_work_group_size: 1
    .uses_dynamic_stack: false
    .vgpr_count:     142
    .vgpr_spill_count: 0
    .wavefront_size: 64
amdhsa.target:   amdgcn-amd-amdhsa--gfx906
amdhsa.version:
  - 1
  - 2
...

	.end_amdgpu_metadata
